;; amdgpu-corpus repo=ROCm/rocFFT kind=compiled arch=gfx906 opt=O3
	.text
	.amdgcn_target "amdgcn-amd-amdhsa--gfx906"
	.amdhsa_code_object_version 6
	.protected	bluestein_single_back_len468_dim1_half_op_CI_CI ; -- Begin function bluestein_single_back_len468_dim1_half_op_CI_CI
	.globl	bluestein_single_back_len468_dim1_half_op_CI_CI
	.p2align	8
	.type	bluestein_single_back_len468_dim1_half_op_CI_CI,@function
bluestein_single_back_len468_dim1_half_op_CI_CI: ; @bluestein_single_back_len468_dim1_half_op_CI_CI
; %bb.0:
	s_load_dwordx4 s[0:3], s[4:5], 0x28
	v_mul_u32_u24_e32 v1, 0x4ed, v0
	v_add_u32_sdwa v17, s6, v1 dst_sel:DWORD dst_unused:UNUSED_PAD src0_sel:DWORD src1_sel:WORD_1
	v_mov_b32_e32 v18, 0
	s_waitcnt lgkmcnt(0)
	v_cmp_gt_u64_e32 vcc, s[0:1], v[17:18]
	s_and_saveexec_b64 s[0:1], vcc
	s_cbranch_execz .LBB0_23
; %bb.1:
	s_load_dwordx2 s[6:7], s[4:5], 0x0
	s_load_dwordx2 s[12:13], s[4:5], 0x38
	v_mov_b32_e32 v2, 52
	v_mul_lo_u16_sdwa v1, v1, v2 dst_sel:DWORD dst_unused:UNUSED_PAD src0_sel:WORD_1 src1_sel:DWORD
	v_sub_u16_e32 v35, v0, v1
	v_cmp_gt_u16_e32 vcc, 36, v35
	v_lshlrev_b32_e32 v34, 2, v35
	s_and_saveexec_b64 s[14:15], vcc
	s_cbranch_execz .LBB0_3
; %bb.2:
	s_load_dwordx2 s[0:1], s[4:5], 0x18
	s_waitcnt lgkmcnt(0)
	s_load_dwordx4 s[8:11], s[0:1], 0x0
	s_waitcnt lgkmcnt(0)
	v_mad_u64_u32 v[0:1], s[0:1], s10, v17, 0
	v_mad_u64_u32 v[2:3], s[0:1], s8, v35, 0
	;; [unrolled: 1-line block ×4, first 2 shown]
	v_mov_b32_e32 v1, v4
	v_lshlrev_b64 v[0:1], 2, v[0:1]
	v_mov_b32_e32 v3, v5
	v_mov_b32_e32 v6, s3
	v_lshlrev_b64 v[2:3], 2, v[2:3]
	v_add_co_u32_e64 v0, s[0:1], s2, v0
	v_addc_co_u32_e64 v1, s[0:1], v6, v1, s[0:1]
	v_add_co_u32_e64 v0, s[0:1], v0, v2
	v_addc_co_u32_e64 v1, s[0:1], v1, v3, s[0:1]
	s_mul_i32 s0, s9, 0x90
	s_mul_hi_u32 s3, s8, 0x90
	s_mul_i32 s2, s8, 0x90
	s_add_i32 s3, s3, s0
	global_load_dword v2, v[0:1], off
	global_load_dword v3, v34, s[6:7]
	global_load_dword v4, v34, s[6:7] offset:144
	global_load_dword v5, v34, s[6:7] offset:288
	v_mov_b32_e32 v6, s3
	v_add_co_u32_e64 v0, s[0:1], s2, v0
	v_addc_co_u32_e64 v1, s[0:1], v1, v6, s[0:1]
	v_mov_b32_e32 v7, s3
	global_load_dword v6, v[0:1], off
	v_add_co_u32_e64 v0, s[0:1], s2, v0
	v_addc_co_u32_e64 v1, s[0:1], v1, v7, s[0:1]
	global_load_dword v7, v[0:1], off
	v_mov_b32_e32 v8, s3
	v_add_co_u32_e64 v0, s[0:1], s2, v0
	v_addc_co_u32_e64 v1, s[0:1], v1, v8, s[0:1]
	global_load_dword v8, v[0:1], off
	global_load_dword v9, v34, s[6:7] offset:432
	global_load_dword v10, v34, s[6:7] offset:576
	;; [unrolled: 1-line block ×5, first 2 shown]
	v_mov_b32_e32 v14, s3
	v_add_co_u32_e64 v0, s[0:1], s2, v0
	v_addc_co_u32_e64 v1, s[0:1], v1, v14, s[0:1]
	global_load_dword v14, v[0:1], off
	v_mov_b32_e32 v15, s3
	v_add_co_u32_e64 v0, s[0:1], s2, v0
	v_addc_co_u32_e64 v1, s[0:1], v1, v15, s[0:1]
	global_load_dword v15, v[0:1], off
	global_load_dword v16, v34, s[6:7] offset:1152
	v_mov_b32_e32 v18, s3
	v_add_co_u32_e64 v0, s[0:1], s2, v0
	v_addc_co_u32_e64 v1, s[0:1], v1, v18, s[0:1]
	global_load_dword v18, v[0:1], off
	v_mov_b32_e32 v19, s3
	v_add_co_u32_e64 v0, s[0:1], s2, v0
	v_addc_co_u32_e64 v1, s[0:1], v1, v19, s[0:1]
	global_load_dword v19, v[0:1], off
	v_mov_b32_e32 v20, s3
	v_add_co_u32_e64 v0, s[0:1], s2, v0
	v_addc_co_u32_e64 v1, s[0:1], v1, v20, s[0:1]
	global_load_dword v20, v[0:1], off
	v_mov_b32_e32 v21, s3
	v_add_co_u32_e64 v0, s[0:1], s2, v0
	v_addc_co_u32_e64 v1, s[0:1], v1, v21, s[0:1]
	global_load_dword v21, v[0:1], off
	global_load_dword v22, v34, s[6:7] offset:1296
	global_load_dword v23, v34, s[6:7] offset:1440
	v_mov_b32_e32 v24, s3
	v_add_co_u32_e64 v0, s[0:1], s2, v0
	v_addc_co_u32_e64 v1, s[0:1], v1, v24, s[0:1]
	global_load_dword v24, v[0:1], off
	v_mov_b32_e32 v25, s3
	v_add_co_u32_e64 v0, s[0:1], s2, v0
	v_addc_co_u32_e64 v1, s[0:1], v1, v25, s[0:1]
	global_load_dword v25, v[0:1], off
	global_load_dword v27, v34, s[6:7] offset:1584
	v_mov_b32_e32 v28, s3
	v_add_co_u32_e64 v0, s[0:1], s2, v0
	v_addc_co_u32_e64 v1, s[0:1], v1, v28, s[0:1]
	global_load_dword v28, v[0:1], off
	global_load_dword v29, v34, s[6:7] offset:1728
	s_waitcnt vmcnt(25)
	v_lshrrev_b32_e32 v26, 16, v2
	s_waitcnt vmcnt(24)
	v_mul_f16_sdwa v0, v3, v2 dst_sel:DWORD dst_unused:UNUSED_PAD src0_sel:WORD_1 src1_sel:DWORD
	v_mul_f16_sdwa v1, v3, v26 dst_sel:DWORD dst_unused:UNUSED_PAD src0_sel:WORD_1 src1_sel:DWORD
	v_fma_f16 v0, v3, v26, -v0
	v_fma_f16 v1, v3, v2, v1
	v_pack_b32_f16 v0, v1, v0
	s_waitcnt vmcnt(21)
	v_lshrrev_b32_e32 v2, 16, v6
	v_mul_f16_sdwa v3, v4, v6 dst_sel:DWORD dst_unused:UNUSED_PAD src0_sel:WORD_1 src1_sel:DWORD
	v_fma_f16 v3, v4, v2, -v3
	v_mul_f16_sdwa v2, v4, v2 dst_sel:DWORD dst_unused:UNUSED_PAD src0_sel:WORD_1 src1_sel:DWORD
	v_fma_f16 v2, v4, v6, v2
	s_waitcnt vmcnt(20)
	v_lshrrev_b32_e32 v4, 16, v7
	v_mul_f16_sdwa v1, v5, v7 dst_sel:DWORD dst_unused:UNUSED_PAD src0_sel:WORD_1 src1_sel:DWORD
	v_fma_f16 v1, v5, v4, -v1
	v_mul_f16_sdwa v4, v5, v4 dst_sel:DWORD dst_unused:UNUSED_PAD src0_sel:WORD_1 src1_sel:DWORD
	v_fma_f16 v4, v5, v7, v4
	s_waitcnt vmcnt(19)
	v_lshrrev_b32_e32 v5, 16, v8
	s_waitcnt vmcnt(18)
	v_mul_f16_sdwa v6, v9, v8 dst_sel:DWORD dst_unused:UNUSED_PAD src0_sel:WORD_1 src1_sel:DWORD
	v_pack_b32_f16 v2, v2, v3
	v_mul_f16_sdwa v3, v9, v5 dst_sel:DWORD dst_unused:UNUSED_PAD src0_sel:WORD_1 src1_sel:DWORD
	v_fma_f16 v5, v9, v5, -v6
	ds_write2_b32 v34, v0, v2 offset1:36
	v_pack_b32_f16 v0, v4, v1
	v_fma_f16 v1, v9, v8, v3
	v_pack_b32_f16 v1, v1, v5
	ds_write2_b32 v34, v0, v1 offset0:72 offset1:108
	s_waitcnt vmcnt(13)
	v_lshrrev_b32_e32 v0, 16, v14
	v_mul_f16_sdwa v1, v10, v0 dst_sel:DWORD dst_unused:UNUSED_PAD src0_sel:WORD_1 src1_sel:DWORD
	v_mul_f16_sdwa v2, v10, v14 dst_sel:DWORD dst_unused:UNUSED_PAD src0_sel:WORD_1 src1_sel:DWORD
	v_fma_f16 v1, v10, v14, v1
	v_fma_f16 v0, v10, v0, -v2
	v_pack_b32_f16 v0, v1, v0
	s_waitcnt vmcnt(12)
	v_lshrrev_b32_e32 v1, 16, v15
	v_mul_f16_sdwa v2, v11, v1 dst_sel:DWORD dst_unused:UNUSED_PAD src0_sel:WORD_1 src1_sel:DWORD
	v_mul_f16_sdwa v3, v11, v15 dst_sel:DWORD dst_unused:UNUSED_PAD src0_sel:WORD_1 src1_sel:DWORD
	v_fma_f16 v2, v11, v15, v2
	v_fma_f16 v1, v11, v1, -v3
	v_pack_b32_f16 v1, v2, v1
	ds_write2_b32 v34, v0, v1 offset0:144 offset1:180
	s_waitcnt vmcnt(10)
	v_lshrrev_b32_e32 v0, 16, v18
	v_mul_f16_sdwa v1, v12, v0 dst_sel:DWORD dst_unused:UNUSED_PAD src0_sel:WORD_1 src1_sel:DWORD
	v_mul_f16_sdwa v2, v12, v18 dst_sel:DWORD dst_unused:UNUSED_PAD src0_sel:WORD_1 src1_sel:DWORD
	v_fma_f16 v1, v12, v18, v1
	v_fma_f16 v0, v12, v0, -v2
	v_pack_b32_f16 v0, v1, v0
	s_waitcnt vmcnt(9)
	v_lshrrev_b32_e32 v1, 16, v19
	v_mul_f16_sdwa v2, v13, v1 dst_sel:DWORD dst_unused:UNUSED_PAD src0_sel:WORD_1 src1_sel:DWORD
	v_mul_f16_sdwa v3, v13, v19 dst_sel:DWORD dst_unused:UNUSED_PAD src0_sel:WORD_1 src1_sel:DWORD
	v_fma_f16 v2, v13, v19, v2
	v_fma_f16 v1, v13, v1, -v3
	v_pack_b32_f16 v1, v2, v1
	ds_write2_b32 v34, v0, v1 offset0:216 offset1:252
	s_waitcnt vmcnt(8)
	v_lshrrev_b32_e32 v0, 16, v20
	v_mul_f16_sdwa v1, v16, v0 dst_sel:DWORD dst_unused:UNUSED_PAD src0_sel:WORD_1 src1_sel:DWORD
	v_mul_f16_sdwa v2, v16, v20 dst_sel:DWORD dst_unused:UNUSED_PAD src0_sel:WORD_1 src1_sel:DWORD
	v_fma_f16 v1, v16, v20, v1
	v_fma_f16 v0, v16, v0, -v2
	v_pack_b32_f16 v0, v1, v0
	s_waitcnt vmcnt(7)
	v_lshrrev_b32_e32 v1, 16, v21
	s_waitcnt vmcnt(6)
	v_mul_f16_sdwa v2, v22, v1 dst_sel:DWORD dst_unused:UNUSED_PAD src0_sel:WORD_1 src1_sel:DWORD
	v_mul_f16_sdwa v3, v22, v21 dst_sel:DWORD dst_unused:UNUSED_PAD src0_sel:WORD_1 src1_sel:DWORD
	v_fma_f16 v2, v22, v21, v2
	v_fma_f16 v1, v22, v1, -v3
	v_pack_b32_f16 v1, v2, v1
	v_add_u32_e32 v2, 0x400, v34
	ds_write2_b32 v2, v0, v1 offset0:32 offset1:68
	s_waitcnt vmcnt(4)
	v_lshrrev_b32_e32 v0, 16, v24
	v_mul_f16_sdwa v1, v23, v0 dst_sel:DWORD dst_unused:UNUSED_PAD src0_sel:WORD_1 src1_sel:DWORD
	v_mul_f16_sdwa v3, v23, v24 dst_sel:DWORD dst_unused:UNUSED_PAD src0_sel:WORD_1 src1_sel:DWORD
	v_fma_f16 v1, v23, v24, v1
	v_fma_f16 v0, v23, v0, -v3
	v_pack_b32_f16 v0, v1, v0
	s_waitcnt vmcnt(3)
	v_lshrrev_b32_e32 v1, 16, v25
	s_waitcnt vmcnt(2)
	v_mul_f16_sdwa v3, v27, v1 dst_sel:DWORD dst_unused:UNUSED_PAD src0_sel:WORD_1 src1_sel:DWORD
	v_mul_f16_sdwa v4, v27, v25 dst_sel:DWORD dst_unused:UNUSED_PAD src0_sel:WORD_1 src1_sel:DWORD
	v_fma_f16 v3, v27, v25, v3
	v_fma_f16 v1, v27, v1, -v4
	v_pack_b32_f16 v1, v3, v1
	ds_write2_b32 v2, v0, v1 offset0:104 offset1:140
	s_waitcnt vmcnt(1)
	v_lshrrev_b32_e32 v0, 16, v28
	s_waitcnt vmcnt(0)
	v_mul_f16_sdwa v1, v29, v0 dst_sel:DWORD dst_unused:UNUSED_PAD src0_sel:WORD_1 src1_sel:DWORD
	v_mul_f16_sdwa v2, v29, v28 dst_sel:DWORD dst_unused:UNUSED_PAD src0_sel:WORD_1 src1_sel:DWORD
	v_fma_f16 v1, v29, v28, v1
	v_fma_f16 v0, v29, v0, -v2
	v_pack_b32_f16 v0, v1, v0
	ds_write_b32 v34, v0 offset:1728
.LBB0_3:
	s_or_b64 exec, exec, s[14:15]
	s_load_dwordx2 s[0:1], s[4:5], 0x20
	s_load_dwordx2 s[2:3], s[4:5], 0x8
	v_mov_b32_e32 v0, 0
	s_waitcnt lgkmcnt(0)
	; wave barrier
	s_waitcnt lgkmcnt(0)
                                        ; implicit-def: $vgpr13
                                        ; implicit-def: $vgpr3
                                        ; implicit-def: $vgpr7
                                        ; implicit-def: $vgpr5
                                        ; implicit-def: $vgpr9
                                        ; implicit-def: $vgpr11
	s_and_saveexec_b64 s[4:5], vcc
	s_cbranch_execz .LBB0_5
; %bb.4:
	ds_read2_b32 v[0:1], v34 offset1:36
	ds_read2_b32 v[10:11], v34 offset0:72 offset1:108
	ds_read2_b32 v[8:9], v34 offset0:144 offset1:180
	;; [unrolled: 1-line block ×3, first 2 shown]
	v_add_u32_e32 v2, 0x400, v34
	ds_read2_b32 v[6:7], v2 offset0:32 offset1:68
	ds_read2_b32 v[2:3], v2 offset0:104 offset1:140
	ds_read_b32 v13, v34 offset:1728
.LBB0_5:
	s_or_b64 exec, exec, s[4:5]
	s_waitcnt lgkmcnt(0)
	v_pk_add_f16 v14, v1, v13 neg_lo:[0,1] neg_hi:[0,1]
	s_mov_b32 s4, 0xb770
	v_pk_add_f16 v12, v13, v1
	s_movk_i32 s8, 0x3b15
	v_mul_f16_sdwa v22, v14, s4 dst_sel:DWORD dst_unused:UNUSED_PAD src0_sel:WORD_1 src1_sel:DWORD
	v_fma_f16 v15, v12, s8, v22
	s_mov_b32 s10, 0xba95
	v_pk_add_f16 v16, v10, v3 neg_lo:[0,1] neg_hi:[0,1]
	v_add_f16_e32 v18, v15, v0
	s_movk_i32 s9, 0x388b
	v_pk_add_f16 v15, v3, v10
	v_mul_f16_sdwa v29, v16, s10 dst_sel:DWORD dst_unused:UNUSED_PAD src0_sel:WORD_1 src1_sel:DWORD
	v_lshrrev_b32_e32 v47, 16, v12
	v_mul_f16_e32 v28, 0xba95, v14
	v_fma_f16 v19, v15, s9, v29
	v_add_f16_e32 v18, v19, v18
	v_fma_f16 v19, v47, s9, -v28
	s_mov_b32 s11, 0xb5ac
	v_lshrrev_b32_e32 v53, 16, v15
	v_mul_f16_e32 v38, 0xbb7b, v16
	s_mov_b32 s4, 0xbbf1
	v_add_f16_sdwa v19, v19, v0 dst_sel:DWORD dst_unused:UNUSED_PAD src0_sel:DWORD src1_sel:WORD_1
	v_fma_f16 v20, v53, s11, -v38
	s_movk_i32 s16, 0x2fb7
	v_mul_f16_sdwa v42, v14, s4 dst_sel:DWORD dst_unused:UNUSED_PAD src0_sel:WORD_1 src1_sel:DWORD
	s_mov_b32 s18, 0xb3a8
	v_add_f16_e32 v19, v20, v19
	v_fma_f16 v20, v12, s16, v42
	s_mov_b32 s14, 0xbbc4
	v_mul_f16_sdwa v43, v16, s18 dst_sel:DWORD dst_unused:UNUSED_PAD src0_sel:WORD_1 src1_sel:DWORD
	v_add_f16_e32 v20, v20, v0
	v_fma_f16 v21, v15, s14, v43
	v_mul_f16_e32 v44, 0xbbf1, v14
	v_add_f16_e32 v20, v21, v20
	v_fma_f16 v21, v47, s16, -v44
	v_mul_f16_e32 v45, 0xb3a8, v16
	s_mov_b32 s15, 0xbb7b
	v_add_f16_sdwa v21, v21, v0 dst_sel:DWORD dst_unused:UNUSED_PAD src0_sel:DWORD src1_sel:WORD_1
	v_fma_f16 v23, v53, s14, -v45
	v_mul_f16_sdwa v49, v14, s15 dst_sel:DWORD dst_unused:UNUSED_PAD src0_sel:WORD_1 src1_sel:DWORD
	s_movk_i32 s5, 0x394e
	v_add_f16_e32 v24, v23, v21
	v_fma_f16 v21, v12, s11, v49
	s_mov_b32 s17, 0xb9fd
	v_mul_f16_sdwa v51, v16, s5 dst_sel:DWORD dst_unused:UNUSED_PAD src0_sel:WORD_1 src1_sel:DWORD
	v_add_f16_e32 v21, v21, v0
	v_fma_f16 v23, v15, s17, v51
	v_mul_f16_e32 v56, 0xbb7b, v14
	v_add_f16_e32 v25, v23, v21
	v_fma_f16 v21, v47, s11, -v56
	v_mul_f16_e32 v57, 0x394e, v16
	v_add_f16_sdwa v21, v21, v0 dst_sel:DWORD dst_unused:UNUSED_PAD src0_sel:DWORD src1_sel:WORD_1
	v_fma_f16 v23, v53, s17, -v57
	v_add_f16_e32 v26, v23, v21
	v_pk_add_f16 v23, v11, v2 neg_lo:[0,1] neg_hi:[0,1]
	v_pk_add_f16 v21, v2, v11
	v_mul_f16_sdwa v41, v23, s4 dst_sel:DWORD dst_unused:UNUSED_PAD src0_sel:WORD_1 src1_sel:DWORD
	v_fma_f16 v27, v21, s16, v41
	v_lshrrev_b32_e32 v64, 16, v21
	v_mul_f16_e32 v46, 0xb3a8, v23
	s_movk_i32 s5, 0x3b7b
	v_add_f16_e32 v18, v27, v18
	v_fma_f16 v27, v64, s14, -v46
	v_mul_f16_sdwa v50, v23, s5 dst_sel:DWORD dst_unused:UNUSED_PAD src0_sel:WORD_1 src1_sel:DWORD
	v_add_f16_e32 v19, v27, v19
	v_fma_f16 v27, v21, s11, v50
	v_mul_f16_e32 v55, 0x3b7b, v23
	s_movk_i32 s19, 0x3770
	v_add_f16_e32 v20, v27, v20
	v_fma_f16 v27, v64, s11, -v55
	v_mul_f16_sdwa v59, v23, s19 dst_sel:DWORD dst_unused:UNUSED_PAD src0_sel:WORD_1 src1_sel:DWORD
	v_add_f16_e32 v27, v27, v24
	v_fma_f16 v24, v21, s8, v59
	v_mul_f16_e32 v63, 0x3770, v23
	v_add_f16_e32 v25, v24, v25
	v_fma_f16 v24, v64, s8, -v63
	v_add_f16_e32 v30, v24, v26
	v_pk_add_f16 v26, v8, v7 neg_lo:[0,1] neg_hi:[0,1]
	v_pk_add_f16 v24, v7, v8
	v_mul_f16_sdwa v48, v26, s15 dst_sel:DWORD dst_unused:UNUSED_PAD src0_sel:WORD_1 src1_sel:DWORD
	v_fma_f16 v31, v24, s11, v48
	v_lshrrev_b32_e32 v71, 16, v24
	v_mul_f16_e32 v52, 0x394e, v26
	v_add_f16_e32 v18, v31, v18
	v_fma_f16 v31, v71, s17, -v52
	v_mul_f16_sdwa v58, v26, s19 dst_sel:DWORD dst_unused:UNUSED_PAD src0_sel:WORD_1 src1_sel:DWORD
	v_add_f16_e32 v19, v31, v19
	v_fma_f16 v31, v24, s8, v58
	v_mul_f16_e32 v62, 0x3770, v26
	v_add_f16_e32 v20, v31, v20
	v_fma_f16 v31, v71, s8, -v62
	v_mul_f16_sdwa v66, v26, s4 dst_sel:DWORD dst_unused:UNUSED_PAD src0_sel:WORD_1 src1_sel:DWORD
	v_add_f16_e32 v27, v31, v27
	v_fma_f16 v31, v24, s16, v66
	v_mul_f16_e32 v69, 0xbbf1, v26
	v_add_f16_e32 v25, v31, v25
	v_fma_f16 v31, v71, s16, -v69
	v_add_f16_e32 v32, v31, v30
	s_mov_b32 s20, 0xb94e
	v_pk_add_f16 v31, v9, v6 neg_lo:[0,1] neg_hi:[0,1]
	v_pk_add_f16 v30, v6, v9
	v_mul_f16_sdwa v54, v31, s20 dst_sel:DWORD dst_unused:UNUSED_PAD src0_sel:WORD_1 src1_sel:DWORD
	v_fma_f16 v33, v30, s17, v54
	v_lshrrev_b32_e32 v77, 16, v30
	v_mul_f16_e32 v60, 0x3bf1, v31
	v_add_f16_e32 v18, v33, v18
	v_fma_f16 v33, v77, s16, -v60
	v_mul_f16_sdwa v65, v31, s10 dst_sel:DWORD dst_unused:UNUSED_PAD src0_sel:WORD_1 src1_sel:DWORD
	v_add_f16_e32 v33, v33, v19
	v_fma_f16 v19, v30, s9, v65
	v_mul_f16_e32 v67, 0xba95, v31
	s_movk_i32 s21, 0x33a8
	v_add_f16_e32 v19, v19, v20
	v_fma_f16 v20, v77, s9, -v67
	v_mul_f16_sdwa v73, v31, s21 dst_sel:DWORD dst_unused:UNUSED_PAD src0_sel:WORD_1 src1_sel:DWORD
	v_add_f16_e32 v27, v20, v27
	v_fma_f16 v20, v30, s14, v73
	v_mul_f16_e32 v78, 0x33a8, v31
	v_pk_add_f16 v40, v4, v5 neg_lo:[0,1] neg_hi:[0,1]
	s_mov_b32 s4, 0x3b15388b
	v_add_f16_e32 v91, v20, v25
	v_fma_f16 v20, v77, s14, -v78
	v_pk_add_f16 v39, v5, v4
	v_mul_f16_sdwa v61, v40, s18 dst_sel:DWORD dst_unused:UNUSED_PAD src0_sel:WORD_1 src1_sel:DWORD
	s_mov_b32 s5, 0xba95b770
	s_mov_b32 s22, 0x388bb5ac
	v_pk_mul_f16 v37, v12, s4
	v_add_f16_e32 v32, v20, v32
	v_fma_f16 v20, v39, s14, v61
	s_mov_b32 s23, 0xbb7bba95
	s_mov_b32 s24, 0x2fb7bbc4
	v_pk_fma_f16 v68, v14, s5, v37 op_sel:[0,0,1] op_sel_hi:[1,1,0]
	v_pk_mul_f16 v82, v15, s22
	v_add_f16_e32 v36, v20, v18
	s_mov_b32 s25, 0xb3a8bbf1
	s_mov_b32 s26, 0xb5acb9fd
	v_pk_fma_f16 v70, v16, s23, v82 op_sel:[0,0,1] op_sel_hi:[1,1,0]
	v_add_f16_sdwa v18, v68, v0 dst_sel:DWORD dst_unused:UNUSED_PAD src0_sel:WORD_1 src1_sel:DWORD
	v_pk_mul_f16 v83, v21, s24
	s_mov_b32 s27, 0x394ebb7b
	s_mov_b32 s28, 0xb9fd2fb7
	v_add_f16_sdwa v18, v70, v18 dst_sel:DWORD dst_unused:UNUSED_PAD src0_sel:WORD_1 src1_sel:DWORD
	v_pk_fma_f16 v72, v23, s25, v83 op_sel:[0,0,1] op_sel_hi:[1,1,0]
	v_pk_mul_f16 v84, v24, s26
	s_mov_b32 s29, 0x3bf1b94e
	s_mov_b32 s30, 0xbbc43b15
	v_add_f16_sdwa v18, v72, v18 dst_sel:DWORD dst_unused:UNUSED_PAD src0_sel:WORD_1 src1_sel:DWORD
	v_pk_fma_f16 v74, v26, s27, v84 op_sel:[0,0,1] op_sel_hi:[1,1,0]
	v_pk_mul_f16 v85, v30, s28
	s_mov_b32 s31, 0x3770b3a8
	v_add_f16_sdwa v18, v74, v18 dst_sel:DWORD dst_unused:UNUSED_PAD src0_sel:WORD_1 src1_sel:DWORD
	v_pk_fma_f16 v75, v31, s29, v85 op_sel:[0,0,1] op_sel_hi:[1,1,0]
	v_mul_f16_sdwa v80, v40, s20 dst_sel:DWORD dst_unused:UNUSED_PAD src0_sel:WORD_1 src1_sel:DWORD
	v_pk_mul_f16 v86, v39, s30
	v_lshrrev_b32_e32 v89, 16, v39
	v_mul_f16_e32 v87, 0xb94e, v40
	v_add_f16_sdwa v20, v75, v18 dst_sel:DWORD dst_unused:UNUSED_PAD src0_sel:WORD_1 src1_sel:DWORD
	v_fma_f16 v18, v39, s17, v80
	v_pk_fma_f16 v76, v40, s31, v86 op_sel:[0,0,1] op_sel_hi:[1,1,0]
	v_mul_f16_e32 v79, 0x3770, v40
	v_fma_f16 v25, v89, s17, -v87
	v_mul_f16_e32 v88, 0x3a95, v40
	v_add_f16_e32 v18, v18, v19
	v_add_f16_sdwa v19, v76, v20 dst_sel:DWORD dst_unused:UNUSED_PAD src0_sel:WORD_1 src1_sel:DWORD
	v_fma_f16 v20, v89, s8, -v79
	v_add_f16_e32 v25, v25, v27
	v_fma_f16 v27, v89, s9, -v88
	v_pk_fma_f16 v81, v14, s5, v37 op_sel:[0,0,1] op_sel_hi:[1,1,0] neg_lo:[1,0,0] neg_hi:[1,0,0]
	v_add_f16_e32 v20, v20, v33
	v_add_f16_e32 v33, v27, v32
	v_pk_fma_f16 v82, v16, s23, v82 op_sel:[0,0,1] op_sel_hi:[1,1,0] neg_lo:[1,0,0] neg_hi:[1,0,0]
	v_add_f16_sdwa v27, v81, v0 dst_sel:DWORD dst_unused:UNUSED_PAD src0_sel:DWORD src1_sel:WORD_1
	v_pk_fma_f16 v83, v23, s25, v83 op_sel:[0,0,1] op_sel_hi:[1,1,0] neg_lo:[1,0,0] neg_hi:[1,0,0]
	v_add_f16_e32 v27, v82, v27
	v_pk_fma_f16 v84, v26, s27, v84 op_sel:[0,0,1] op_sel_hi:[1,1,0] neg_lo:[1,0,0] neg_hi:[1,0,0]
	v_add_f16_e32 v27, v83, v27
	;; [unrolled: 2-line block ×3, first 2 shown]
	s_movk_i32 s23, 0x3a95
	v_pk_fma_f16 v86, v40, s31, v86 op_sel:[0,0,1] op_sel_hi:[1,1,0] neg_lo:[1,0,0] neg_hi:[1,0,0]
	v_add_f16_e32 v27, v85, v27
	v_mul_f16_sdwa v90, v40, s23 dst_sel:DWORD dst_unused:UNUSED_PAD src0_sel:WORD_1 src1_sel:DWORD
	v_add_f16_e32 v37, v86, v27
	v_fma_f16 v27, v39, s9, v90
	s_movk_i32 s22, 0x3bf1
	v_add_f16_e32 v27, v27, v91
	v_mul_lo_u16_e32 v32, 13, v35
	s_waitcnt lgkmcnt(0)
	; wave barrier
	s_and_saveexec_b64 s[4:5], vcc
	s_cbranch_execz .LBB0_7
; %bb.6:
	v_alignbit_b32 v91, v0, v0, 16
	v_pk_add_f16 v1, v1, v91 op_sel:[0,1] op_sel_hi:[1,0]
	v_mul_f16_e32 v93, 0x388b, v47
	v_pk_add_f16 v1, v10, v1
	v_mul_f16_e32 v94, 0x2fb7, v12
	v_mul_f16_e32 v98, 0xb5ac, v53
	v_add_f16_e32 v28, v28, v93
	v_pk_add_f16 v1, v11, v1
	v_mul_f16_e32 v95, 0x2fb7, v47
	v_mul_f16_e32 v99, 0xbbc4, v15
	;; [unrolled: 1-line block ×3, first 2 shown]
	v_sub_f16_e32 v42, v94, v42
	v_add_f16_sdwa v28, v28, v0 dst_sel:DWORD dst_unused:UNUSED_PAD src0_sel:DWORD src1_sel:WORD_1
	v_add_f16_e32 v38, v38, v98
	v_pk_add_f16 v1, v8, v1
	v_mul_f16_e32 v100, 0xbbc4, v53
	v_mul_f16_e32 v104, 0xb5ac, v21
	;; [unrolled: 1-line block ×3, first 2 shown]
	v_add_f16_e32 v44, v44, v95
	v_add_f16_e32 v42, v42, v0
	v_sub_f16_e32 v43, v99, v43
	v_add_f16_e32 v28, v38, v28
	v_add_f16_e32 v38, v46, v103
	v_pk_add_f16 v1, v9, v1
	v_mul_f16_e32 v105, 0xb5ac, v64
	v_mul_f16_e32 v109, 0x3b15, v24
	;; [unrolled: 1-line block ×3, first 2 shown]
	v_add_f16_sdwa v44, v44, v0 dst_sel:DWORD dst_unused:UNUSED_PAD src0_sel:DWORD src1_sel:WORD_1
	v_add_f16_e32 v45, v45, v100
	v_add_f16_e32 v42, v43, v42
	v_sub_f16_e32 v43, v104, v50
	v_add_f16_e32 v28, v38, v28
	v_add_f16_e32 v38, v52, v108
	v_pk_add_f16 v1, v4, v1
	v_mul_f16_e32 v96, 0xb5ac, v12
	v_mul_f16_e32 v110, 0x3b15, v71
	;; [unrolled: 1-line block ×4, first 2 shown]
	v_add_f16_e32 v44, v45, v44
	v_add_f16_e32 v45, v55, v105
	;; [unrolled: 1-line block ×3, first 2 shown]
	v_sub_f16_e32 v43, v109, v58
	v_add_f16_e32 v28, v38, v28
	v_add_f16_e32 v38, v60, v113
	v_pk_add_f16 v1, v5, v1
	v_mul_f16_e32 v92, 0x3b15, v12
	v_mul_f16_e32 v47, 0xb5ac, v47
	;; [unrolled: 1-line block ×5, first 2 shown]
	v_sub_f16_e32 v49, v96, v49
	v_add_f16_e32 v44, v45, v44
	v_add_f16_e32 v45, v62, v110
	;; [unrolled: 1-line block ×3, first 2 shown]
	v_sub_f16_e32 v43, v114, v65
	v_add_f16_e32 v28, v38, v28
	v_add_f16_e32 v38, v79, v118
	s_mov_b32 s24, 0xffff
	v_pk_add_f16 v1, v6, v1
	v_mul_f16_e32 v97, 0x388b, v15
	v_mul_f16_e32 v106, 0x3b15, v21
	v_mul_f16_e32 v120, 0xb9fd, v89
	v_add_f16_e32 v47, v56, v47
	v_add_f16_e32 v49, v49, v0
	v_sub_f16_e32 v51, v101, v51
	v_add_f16_e32 v44, v45, v44
	v_add_f16_e32 v45, v67, v115
	;; [unrolled: 1-line block ×3, first 2 shown]
	v_sub_f16_e32 v43, v119, v80
	v_add_f16_e32 v28, v38, v28
	v_bfi_b32 v38, s24, v68, v81
	v_sub_f16_e32 v22, v92, v22
	v_pk_add_f16 v1, v7, v1
	v_mul_f16_e32 v53, 0xb9fd, v53
	v_mul_f16_e32 v102, 0x2fb7, v21
	v_mul_f16_e32 v111, 0x2fb7, v24
	v_add_f16_sdwa v47, v47, v0 dst_sel:DWORD dst_unused:UNUSED_PAD src0_sel:DWORD src1_sel:WORD_1
	v_add_f16_e32 v49, v51, v49
	v_sub_f16_e32 v51, v106, v59
	v_add_f16_e32 v44, v45, v44
	v_add_f16_e32 v45, v87, v120
	v_add_f16_e32 v42, v43, v42
	v_bfi_b32 v43, s24, v70, v82
	v_add_f16_e32 v0, v22, v0
	v_sub_f16_e32 v22, v97, v29
	v_pk_add_f16 v1, v2, v1
	v_pk_add_f16 v2, v38, v91
	v_mul_f16_e32 v64, 0x3b15, v64
	v_mul_f16_e32 v107, 0xb5ac, v24
	;; [unrolled: 1-line block ×3, first 2 shown]
	v_add_f16_e32 v53, v57, v53
	v_add_f16_e32 v49, v51, v49
	v_sub_f16_e32 v51, v111, v66
	v_add_f16_e32 v44, v45, v44
	v_bfi_b32 v45, s24, v72, v83
	v_add_f16_e32 v0, v22, v0
	v_sub_f16_e32 v22, v102, v41
	v_pk_add_f16 v2, v43, v2
	v_mul_f16_e32 v71, 0x2fb7, v71
	v_mul_f16_e32 v112, 0xb9fd, v30
	v_mul_f16_e32 v121, 0x388b, v39
	v_add_f16_e32 v47, v53, v47
	v_add_f16_e32 v53, v63, v64
	;; [unrolled: 1-line block ×3, first 2 shown]
	v_sub_f16_e32 v51, v116, v73
	v_bfi_b32 v46, s24, v74, v84
	v_add_f16_e32 v0, v22, v0
	v_sub_f16_e32 v22, v107, v48
	v_pk_add_f16 v2, v45, v2
	v_mul_f16_e32 v77, 0xbbc4, v77
	v_mul_f16_e32 v117, 0xbbc4, v39
	v_add_f16_e32 v47, v53, v47
	v_add_f16_e32 v53, v69, v71
	;; [unrolled: 1-line block ×3, first 2 shown]
	v_sub_f16_e32 v51, v121, v90
	v_bfi_b32 v50, s24, v75, v85
	v_add_f16_e32 v0, v22, v0
	v_sub_f16_e32 v22, v112, v54
	v_pk_add_f16 v2, v46, v2
	v_mul_f16_e32 v89, 0x388b, v89
	v_add_f16_e32 v47, v53, v47
	v_add_f16_e32 v53, v78, v77
	;; [unrolled: 1-line block ×3, first 2 shown]
	v_bfi_b32 v51, s24, v76, v86
	v_add_f16_e32 v0, v22, v0
	v_sub_f16_e32 v22, v117, v61
	v_pk_add_f16 v2, v50, v2
	v_add_f16_e32 v47, v53, v47
	v_add_f16_e32 v53, v88, v89
	;; [unrolled: 1-line block ×3, first 2 shown]
	v_pk_add_f16 v2, v51, v2
	v_add_f16_e32 v47, v53, v47
	v_lshlrev_b32_e32 v22, 2, v32
	v_pk_add_f16 v1, v3, v1
	v_alignbit_b32 v3, v28, v2, 16
	v_pack_b32_f16 v0, v0, v2
	ds_write2_b32 v22, v0, v3 offset0:1 offset1:2
	v_pack_b32_f16 v0, v49, v47
	v_pack_b32_f16 v2, v42, v44
	ds_write2_b32 v22, v2, v0 offset0:3 offset1:4
	v_pk_mul_f16 v0, v12, s14 op_sel_hi:[1,0]
	v_pk_fma_f16 v2, v14, s18, v0 op_sel:[0,0,1] op_sel_hi:[1,0,0] neg_lo:[1,0,0] neg_hi:[1,0,0]
	v_pk_mul_f16 v3, v15, s8 op_sel_hi:[1,0]
	v_pk_add_f16 v2, v2, v91
	v_pk_fma_f16 v4, v16, s19, v3 op_sel:[0,0,1] op_sel_hi:[1,0,0] neg_lo:[1,0,0] neg_hi:[1,0,0]
	v_pk_add_f16 v2, v4, v2
	v_pk_mul_f16 v4, v21, s17 op_sel_hi:[1,0]
	v_pk_fma_f16 v5, v23, s20, v4 op_sel:[0,0,1] op_sel_hi:[1,0,0] neg_lo:[1,0,0] neg_hi:[1,0,0]
	v_pk_add_f16 v2, v5, v2
	v_pk_mul_f16 v5, v24, s9 op_sel_hi:[1,0]
	v_pk_fma_f16 v0, v14, s18, v0 op_sel:[0,0,1] op_sel_hi:[1,0,0]
	v_pk_fma_f16 v6, v26, s23, v5 op_sel:[0,0,1] op_sel_hi:[1,0,0] neg_lo:[1,0,0] neg_hi:[1,0,0]
	v_pk_add_f16 v0, v0, v91
	v_pk_fma_f16 v3, v16, s19, v3 op_sel:[0,0,1] op_sel_hi:[1,0,0]
	v_pk_add_f16 v2, v6, v2
	v_pk_mul_f16 v6, v30, s11 op_sel_hi:[1,0]
	v_pk_add_f16 v0, v3, v0
	v_pk_fma_f16 v3, v23, s20, v4 op_sel:[0,0,1] op_sel_hi:[1,0,0]
	v_pk_fma_f16 v7, v31, s15, v6 op_sel:[0,0,1] op_sel_hi:[1,0,0] neg_lo:[1,0,0] neg_hi:[1,0,0]
	v_pk_add_f16 v0, v3, v0
	v_pk_fma_f16 v3, v26, s23, v5 op_sel:[0,0,1] op_sel_hi:[1,0,0]
	v_pk_add_f16 v2, v7, v2
	v_pk_mul_f16 v7, v39, s16 op_sel_hi:[1,0]
	v_pk_add_f16 v0, v3, v0
	v_pk_fma_f16 v3, v31, s15, v6 op_sel:[0,0,1] op_sel_hi:[1,0,0]
	v_pk_fma_f16 v8, v40, s22, v7 op_sel:[0,0,1] op_sel_hi:[1,0,0] neg_lo:[1,0,0] neg_hi:[1,0,0]
	v_pk_add_f16 v0, v3, v0
	v_pk_fma_f16 v3, v40, s22, v7 op_sel:[0,0,1] op_sel_hi:[1,0,0]
	v_pk_add_f16 v2, v8, v2
	v_pk_add_f16 v0, v3, v0
	v_alignbit_b32 v3, v2, v0, 16
	v_alignbit_b32 v0, v0, v2, 16
	ds_write2_b32 v22, v0, v3 offset0:6 offset1:7
	v_pk_mul_f16 v0, v14, s20 op_sel_hi:[1,0]
	v_pk_fma_f16 v2, v12, s17, v0 op_sel:[0,0,1] op_sel_hi:[1,0,0]
	v_pk_fma_f16 v0, v12, s17, v0 op_sel:[0,0,1] op_sel_hi:[1,0,0] neg_lo:[0,0,1] neg_hi:[0,0,1]
	v_pk_mul_f16 v4, v16, s22 op_sel_hi:[1,0]
	v_bfi_b32 v3, s24, v2, v0
	v_pk_fma_f16 v5, v15, s16, v4 op_sel:[0,0,1] op_sel_hi:[1,0,0]
	v_pk_fma_f16 v4, v15, s16, v4 op_sel:[0,0,1] op_sel_hi:[1,0,0] neg_lo:[0,0,1] neg_hi:[0,0,1]
	v_pk_add_f16 v3, v3, v91 op_sel:[0,1] op_sel_hi:[1,0]
	v_bfi_b32 v6, s24, v5, v4
	v_pk_add_f16 v3, v6, v3
	v_pk_mul_f16 v6, v23, s10 op_sel_hi:[1,0]
	v_pk_fma_f16 v7, v21, s9, v6 op_sel:[0,0,1] op_sel_hi:[1,0,0]
	v_pk_fma_f16 v6, v21, s9, v6 op_sel:[0,0,1] op_sel_hi:[1,0,0] neg_lo:[0,0,1] neg_hi:[0,0,1]
	v_bfi_b32 v8, s24, v7, v6
	v_pk_add_f16 v3, v8, v3
	v_pk_mul_f16 v8, v26, s21 op_sel_hi:[1,0]
	v_pk_fma_f16 v9, v24, s14, v8 op_sel:[0,0,1] op_sel_hi:[1,0,0]
	v_pk_fma_f16 v8, v24, s14, v8 op_sel:[0,0,1] op_sel_hi:[1,0,0] neg_lo:[0,0,1] neg_hi:[0,0,1]
	v_bfi_b32 v10, s24, v9, v8
	v_pk_add_f16 v3, v10, v3
	v_pk_mul_f16 v10, v31, s19 op_sel_hi:[1,0]
	v_alignbit_b32 v2, s0, v2, 16
	v_pk_fma_f16 v11, v30, s8, v10 op_sel:[0,0,1] op_sel_hi:[1,0,0]
	v_pk_fma_f16 v10, v30, s8, v10 op_sel:[0,0,1] op_sel_hi:[1,0,0] neg_lo:[0,0,1] neg_hi:[0,0,1]
	v_pk_add_f16 v2, v2, v91
	v_alignbit_b32 v5, s0, v5, 16
	v_bfi_b32 v12, s24, v11, v10
	v_pk_add_f16 v2, v5, v2
	v_alignbit_b32 v5, s0, v7, 16
	v_pk_add_f16 v3, v12, v3
	v_pk_mul_f16 v12, v40, s15 op_sel_hi:[1,0]
	v_pk_add_f16 v2, v5, v2
	v_alignbit_b32 v5, s0, v9, 16
	v_pk_add_f16 v1, v13, v1
	v_pk_fma_f16 v13, v39, s11, v12 op_sel:[0,0,1] op_sel_hi:[1,0,0]
	v_pk_add_f16 v2, v5, v2
	v_alignbit_b32 v5, s0, v11, 16
	v_pk_add_f16 v2, v5, v2
	v_alignbit_b32 v5, s0, v13, 16
	;; [unrolled: 2-line block ×3, first 2 shown]
	v_pk_add_f16 v0, v0, v5
	v_pk_add_f16 v0, v4, v0
	;; [unrolled: 1-line block ×4, first 2 shown]
	v_pk_fma_f16 v12, v39, s11, v12 op_sel:[0,0,1] op_sel_hi:[1,0,0] neg_lo:[0,0,1] neg_hi:[0,0,1]
	v_pk_add_f16 v0, v10, v0
	v_pk_add_f16 v0, v12, v0
	v_bfi_b32 v14, s24, v13, v12
	v_pack_b32_f16 v0, v0, v2
	s_mov_b32 s8, 0x5040100
	v_pk_add_f16 v3, v14, v3
	ds_write2_b32 v22, v1, v0 offset1:5
	v_perm_b32 v0, v33, v27, s8
	ds_write2_b32 v22, v3, v0 offset0:8 offset1:9
	v_perm_b32 v0, v20, v19, s8
	v_perm_b32 v1, v25, v18, s8
	ds_write2_b32 v22, v1, v0 offset0:10 offset1:11
	v_perm_b32 v0, v37, v36, s8
	ds_write_b32 v22, v0 offset:48
.LBB0_7:
	s_or_b64 exec, exec, s[4:5]
	s_load_dwordx4 s[8:11], s[0:1], 0x0
	s_movk_i32 s0, 0x4f
	v_mul_lo_u16_sdwa v0, v35, s0 dst_sel:DWORD dst_unused:UNUSED_PAD src0_sel:BYTE_0 src1_sel:DWORD
	v_lshrrev_b16_e32 v16, 10, v0
	v_mul_lo_u16_e32 v0, 13, v16
	v_sub_u16_e32 v0, v35, v0
	v_and_b32_e32 v21, 0xff, v0
	v_lshlrev_b32_e32 v8, 5, v21
	s_waitcnt lgkmcnt(0)
	; wave barrier
	s_waitcnt lgkmcnt(0)
	global_load_dwordx4 v[0:3], v8, s[2:3]
	global_load_dwordx4 v[4:7], v8, s[2:3] offset:16
	ds_read2_b32 v[8:9], v34 offset1:52
	ds_read2_b32 v[10:11], v34 offset0:104 offset1:156
	v_add_u32_e32 v52, 0x200, v34
	ds_read_b32 v22, v34 offset:1664
	v_add_u32_e32 v51, 0x400, v34
	ds_read2_b32 v[12:13], v52 offset0:80 offset1:132
	ds_read2_b32 v[14:15], v51 offset0:56 offset1:108
	s_waitcnt lgkmcnt(4)
	v_lshrrev_b32_e32 v24, 16, v9
	s_waitcnt lgkmcnt(3)
	v_lshrrev_b32_e32 v26, 16, v10
	;; [unrolled: 2-line block ×3, first 2 shown]
	v_lshrrev_b32_e32 v28, 16, v11
	s_waitcnt lgkmcnt(1)
	v_lshrrev_b32_e32 v30, 16, v12
	v_lshrrev_b32_e32 v31, 16, v13
	s_waitcnt lgkmcnt(0)
	v_lshrrev_b32_e32 v38, 16, v14
	v_lshrrev_b32_e32 v39, 16, v15
	s_movk_i32 s0, 0x3be1
	s_movk_i32 s1, 0x3aee
	;; [unrolled: 1-line block ×3, first 2 shown]
	s_mov_b32 s16, 0xb924
	s_movk_i32 s5, 0x3a21
	v_lshrrev_b32_e32 v23, 16, v8
	s_movk_i32 s14, 0x318f
	s_mov_b32 s15, 0xbb84
	s_waitcnt lgkmcnt(0)
	; wave barrier
	s_waitcnt vmcnt(1)
	v_mul_f16_sdwa v40, v24, v0 dst_sel:DWORD dst_unused:UNUSED_PAD src0_sel:DWORD src1_sel:WORD_1
	v_mul_f16_sdwa v41, v9, v0 dst_sel:DWORD dst_unused:UNUSED_PAD src0_sel:DWORD src1_sel:WORD_1
	s_waitcnt vmcnt(0)
	v_mul_f16_sdwa v56, v29, v7 dst_sel:DWORD dst_unused:UNUSED_PAD src0_sel:DWORD src1_sel:WORD_1
	v_mul_f16_sdwa v57, v22, v7 dst_sel:DWORD dst_unused:UNUSED_PAD src0_sel:DWORD src1_sel:WORD_1
	;; [unrolled: 1-line block ×14, first 2 shown]
	v_fma_f16 v9, v9, v0, -v40
	v_fma_f16 v24, v24, v0, v41
	v_fma_f16 v22, v22, v7, -v56
	v_fma_f16 v29, v29, v7, v57
	;; [unrolled: 2-line block ×8, first 2 shown]
	v_add_f16_e32 v40, v9, v22
	v_sub_f16_e32 v9, v9, v22
	v_sub_f16_e32 v22, v24, v29
	v_add_f16_e32 v41, v24, v29
	v_add_f16_e32 v42, v10, v15
	;; [unrolled: 1-line block ×5, first 2 shown]
	v_sub_f16_e32 v10, v10, v15
	v_sub_f16_e32 v15, v26, v39
	;; [unrolled: 1-line block ×6, first 2 shown]
	v_mul_f16_e32 v26, 0x3924, v9
	v_mul_f16_e32 v38, 0x3924, v22
	v_fma_f16 v26, v10, s0, v26
	v_fma_f16 v38, v15, s0, v38
	v_mul_f16_e32 v48, 0xb924, v24
	v_mul_f16_e32 v49, 0xb924, v28
	v_fma_f16 v26, v11, s1, v26
	v_fma_f16 v38, v14, s1, v38
	;; [unrolled: 1-line block ×4, first 2 shown]
	s_mov_b32 s0, 0xbaee
	v_fma_f16 v47, v24, s4, v26
	v_fma_f16 v26, v28, s4, v38
	v_fma_f16 v48, v11, s0, v48
	v_fma_f16 v49, v14, s0, v49
	v_add_f16_e32 v54, v24, v9
	v_add_f16_e32 v55, v28, v22
	v_mul_f16_e32 v24, 0x3be1, v24
	v_mul_f16_e32 v28, 0x3be1, v28
	v_fma_f16 v48, v10, s4, v48
	v_fma_f16 v49, v15, s4, v49
	v_sub_f16_e32 v54, v54, v10
	v_sub_f16_e32 v55, v55, v15
	v_fma_f16 v10, v10, s16, -v24
	v_fma_f16 v15, v15, s16, -v28
	v_add_f16_e32 v60, v42, v40
	v_fma_f16 v10, v11, s1, v10
	v_fma_f16 v11, v14, s1, v15
	v_fma_f16 v9, v9, s4, v10
	v_fma_f16 v10, v22, s4, v11
	v_add_f16_e32 v11, v44, v60
	v_add_f16_e32 v11, v12, v11
	;; [unrolled: 1-line block ×4, first 2 shown]
	v_fma_f16 v39, v40, s5, v8
	v_add_f16_e32 v38, v30, v31
	v_fma_f16 v50, v29, s5, v8
	v_add_f16_e32 v58, v44, v8
	v_add_f16_e32 v11, v11, v8
	v_fma_f16 v8, v42, s5, v8
	v_fma_f16 v13, v43, s5, v23
	;; [unrolled: 1-line block ×8, first 2 shown]
	v_add_f16_e32 v61, v43, v41
	v_fma_f16 v8, v44, -0.5, v8
	v_fma_f16 v13, v45, -0.5, v13
	v_fma_f16 v39, v42, s14, v39
	v_fma_f16 v46, v43, s14, v46
	v_fma_f16 v50, v44, -0.5, v50
	v_fma_f16 v53, v45, -0.5, v53
	v_add_f16_e32 v59, v45, v23
	v_add_f16_e32 v62, v29, v60
	;; [unrolled: 1-line block ×4, first 2 shown]
	v_fma_f16 v8, v40, s15, v8
	v_fma_f16 v13, v41, s15, v13
	v_fma_f16 v39, v44, -0.5, v39
	v_fma_f16 v46, v45, -0.5, v46
	v_fma_f16 v50, v42, s15, v50
	v_fma_f16 v53, v43, s15, v53
	v_fma_f16 v58, v62, -0.5, v58
	v_fma_f16 v59, v63, -0.5, v59
	v_add_f16_e32 v12, v30, v14
	v_add_f16_e32 v8, v10, v8
	v_sub_f16_e32 v13, v13, v9
	v_fma_f16 v39, v29, s15, v39
	v_fma_f16 v46, v38, s15, v46
	v_add_f16_e32 v50, v49, v50
	v_sub_f16_e32 v53, v53, v48
	v_mul_f16_e32 v56, 0x3aee, v54
	v_mul_f16_e32 v57, 0x3aee, v55
	v_fma_f16 v55, v55, s1, v58
	v_fma_f16 v54, v54, s0, v59
	v_add_f16_e32 v12, v31, v12
	v_fma_f16 v10, v10, -2.0, v8
	v_fma_f16 v9, v9, 2.0, v13
	v_mul_u32_u24_e32 v14, 0x75, v16
	v_add_f16_e32 v39, v26, v39
	v_sub_f16_e32 v46, v46, v47
	v_fma_f16 v49, v49, -2.0, v50
	v_fma_f16 v48, v48, 2.0, v53
	v_fma_f16 v57, v57, -2.0, v55
	v_fma_f16 v56, v56, 2.0, v54
	v_add_f16_e32 v12, v12, v23
	v_add_lshl_u32 v38, v14, v21, 2
	v_pack_b32_f16 v8, v8, v13
	v_pack_b32_f16 v9, v10, v9
	v_fma_f16 v26, v26, -2.0, v39
	v_fma_f16 v47, v47, 2.0, v46
	v_pack_b32_f16 v11, v11, v12
	v_pack_b32_f16 v12, v39, v46
	ds_write2_b32 v38, v8, v9 offset0:52 offset1:65
	v_pack_b32_f16 v8, v57, v56
	v_pack_b32_f16 v9, v49, v48
	ds_write2_b32 v38, v11, v12 offset1:13
	v_pack_b32_f16 v11, v50, v53
	v_pack_b32_f16 v12, v55, v54
	ds_write2_b32 v38, v8, v9 offset0:78 offset1:91
	v_pack_b32_f16 v8, v26, v47
	ds_write2_b32 v38, v11, v12 offset0:26 offset1:39
	ds_write_b32 v38, v8 offset:416
	s_waitcnt lgkmcnt(0)
	; wave barrier
	s_waitcnt lgkmcnt(0)
	ds_read2_b32 v[21:22], v34 offset1:52
	ds_read2_b32 v[23:24], v34 offset0:117 offset1:169
	ds_read2_b32 v[28:29], v52 offset0:106 offset1:158
	;; [unrolled: 1-line block ×3, first 2 shown]
	v_cmp_gt_u16_e64 s[0:1], 13, v35
	s_and_saveexec_b64 s[4:5], s[0:1]
	s_cbranch_execz .LBB0_9
; %bb.8:
	ds_read2_b32 v[26:27], v34 offset0:104 offset1:221
	ds_read2_b32 v[18:19], v51 offset0:82 offset1:199
	s_waitcnt lgkmcnt(1)
	v_lshrrev_b32_e32 v47, 16, v26
	v_lshrrev_b32_e32 v33, 16, v27
	s_waitcnt lgkmcnt(0)
	v_lshrrev_b32_e32 v25, 16, v18
	v_lshrrev_b32_e32 v20, 16, v19
.LBB0_9:
	s_or_b64 exec, exec, s[4:5]
	v_mad_u64_u32 v[8:9], s[4:5], v35, 12, s[2:3]
	v_add_u32_e32 v10, 0x68, v35
	v_add_u32_e32 v14, -13, v35
	v_cndmask_b32_e64 v10, v14, v10, s[0:1]
	global_load_dwordx3 v[11:13], v[8:9], off offset:416
	global_load_dwordx3 v[14:16], v[8:9], off offset:1040
	v_mul_i32_i24_e32 v8, 12, v10
	v_mov_b32_e32 v39, s3
	v_mul_hi_i32_i24_e32 v40, 12, v10
	v_add_co_u32_e64 v8, s[2:3], s2, v8
	v_addc_co_u32_e64 v9, s[2:3], v39, v40, s[2:3]
	global_load_dwordx3 v[8:10], v[8:9], off offset:416
	s_waitcnt lgkmcnt(2)
	v_lshrrev_b32_e32 v40, 16, v23
	s_waitcnt lgkmcnt(1)
	v_lshrrev_b32_e32 v41, 16, v28
	;; [unrolled: 2-line block ×3, first 2 shown]
	v_lshrrev_b32_e32 v44, 16, v24
	v_lshrrev_b32_e32 v45, 16, v29
	;; [unrolled: 1-line block ×5, first 2 shown]
	s_waitcnt vmcnt(2)
	v_mul_f16_sdwa v48, v40, v11 dst_sel:DWORD dst_unused:UNUSED_PAD src0_sel:DWORD src1_sel:WORD_1
	v_mul_f16_sdwa v50, v41, v12 dst_sel:DWORD dst_unused:UNUSED_PAD src0_sel:DWORD src1_sel:WORD_1
	;; [unrolled: 1-line block ×3, first 2 shown]
	s_waitcnt vmcnt(1)
	v_mul_f16_sdwa v56, v44, v14 dst_sel:DWORD dst_unused:UNUSED_PAD src0_sel:DWORD src1_sel:WORD_1
	v_mul_f16_sdwa v57, v24, v14 dst_sel:DWORD dst_unused:UNUSED_PAD src0_sel:DWORD src1_sel:WORD_1
	v_mul_f16_sdwa v58, v45, v15 dst_sel:DWORD dst_unused:UNUSED_PAD src0_sel:DWORD src1_sel:WORD_1
	v_mul_f16_sdwa v59, v29, v15 dst_sel:DWORD dst_unused:UNUSED_PAD src0_sel:DWORD src1_sel:WORD_1
	v_mul_f16_sdwa v60, v46, v16 dst_sel:DWORD dst_unused:UNUSED_PAD src0_sel:DWORD src1_sel:WORD_1
	v_mul_f16_sdwa v61, v31, v16 dst_sel:DWORD dst_unused:UNUSED_PAD src0_sel:DWORD src1_sel:WORD_1
	v_mul_f16_sdwa v49, v23, v11 dst_sel:DWORD dst_unused:UNUSED_PAD src0_sel:DWORD src1_sel:WORD_1
	v_mul_f16_sdwa v53, v28, v12 dst_sel:DWORD dst_unused:UNUSED_PAD src0_sel:DWORD src1_sel:WORD_1
	v_mul_f16_sdwa v55, v30, v13 dst_sel:DWORD dst_unused:UNUSED_PAD src0_sel:DWORD src1_sel:WORD_1
	s_waitcnt vmcnt(0)
	v_mul_f16_sdwa v62, v33, v8 dst_sel:DWORD dst_unused:UNUSED_PAD src0_sel:DWORD src1_sel:WORD_1
	v_mul_f16_sdwa v63, v27, v8 dst_sel:DWORD dst_unused:UNUSED_PAD src0_sel:DWORD src1_sel:WORD_1
	;; [unrolled: 1-line block ×6, first 2 shown]
	v_fma_f16 v23, v23, v11, -v48
	v_fma_f16 v28, v28, v12, -v50
	;; [unrolled: 1-line block ×4, first 2 shown]
	v_fma_f16 v44, v44, v14, v57
	v_fma_f16 v29, v29, v15, -v58
	v_fma_f16 v45, v45, v15, v59
	v_fma_f16 v31, v31, v16, -v60
	v_fma_f16 v46, v46, v16, v61
	v_fma_f16 v40, v40, v11, v49
	;; [unrolled: 1-line block ×4, first 2 shown]
	v_fma_f16 v27, v27, v8, -v62
	v_fma_f16 v33, v33, v8, v63
	v_fma_f16 v48, v18, v9, -v64
	v_fma_f16 v49, v25, v9, v65
	;; [unrolled: 2-line block ×3, first 2 shown]
	v_sub_f16_e32 v18, v21, v28
	v_sub_f16_e32 v19, v23, v30
	v_sub_f16_e32 v29, v22, v29
	v_sub_f16_e32 v30, v43, v45
	v_sub_f16_e32 v31, v24, v31
	v_sub_f16_e32 v25, v44, v46
	v_sub_f16_e32 v28, v39, v41
	v_sub_f16_e32 v20, v40, v42
	v_fma_f16 v54, v21, 2.0, -v18
	v_fma_f16 v23, v23, 2.0, -v19
	;; [unrolled: 1-line block ×4, first 2 shown]
	v_sub_f16_e32 v25, v29, v25
	v_add_f16_e32 v46, v30, v31
	v_sub_f16_e32 v31, v47, v49
	v_sub_f16_e32 v49, v27, v50
	;; [unrolled: 1-line block ×3, first 2 shown]
	v_fma_f16 v55, v39, 2.0, -v28
	v_fma_f16 v40, v40, 2.0, -v20
	v_sub_f16_e32 v21, v18, v20
	v_fma_f16 v22, v22, 2.0, -v29
	v_fma_f16 v43, v43, 2.0, -v30
	v_sub_f16_e32 v20, v54, v23
	v_fma_f16 v23, v29, 2.0, -v25
	v_fma_f16 v29, v47, 2.0, -v31
	;; [unrolled: 1-line block ×3, first 2 shown]
	v_sub_f16_e32 v41, v55, v40
	v_sub_f16_e32 v24, v22, v24
	;; [unrolled: 1-line block ×3, first 2 shown]
	v_fma_f16 v44, v30, 2.0, -v46
	v_sub_f16_e32 v30, v26, v48
	v_sub_f16_e32 v47, v29, v33
	v_add_f16_e32 v39, v28, v19
	v_fma_f16 v19, v18, 2.0, -v21
	v_fma_f16 v18, v54, 2.0, -v20
	v_fma_f16 v40, v55, 2.0, -v41
	v_fma_f16 v22, v22, 2.0, -v24
	v_fma_f16 v43, v43, 2.0, -v45
	v_fma_f16 v26, v26, 2.0, -v30
	v_fma_f16 v27, v27, 2.0, -v49
	v_fma_f16 v48, v29, 2.0, -v47
	v_sub_f16_e32 v29, v30, v50
	v_fma_f16 v42, v28, 2.0, -v39
	v_sub_f16_e32 v28, v26, v27
	v_add_f16_e32 v49, v31, v49
	v_fma_f16 v27, v30, 2.0, -v29
	v_pack_b32_f16 v30, v18, v40
	v_pack_b32_f16 v54, v22, v43
	v_fma_f16 v50, v31, 2.0, -v49
	v_pack_b32_f16 v31, v19, v42
	ds_write2_b32 v34, v30, v54 offset1:52
	v_pack_b32_f16 v30, v23, v44
	v_pack_b32_f16 v33, v20, v41
	ds_write2_b32 v34, v31, v30 offset0:117 offset1:169
	v_pack_b32_f16 v30, v24, v45
	v_fma_f16 v26, v26, 2.0, -v28
	v_pack_b32_f16 v53, v21, v39
	ds_write2_b32 v52, v33, v30 offset0:106 offset1:158
	v_pack_b32_f16 v30, v25, v46
	ds_write2_b32 v51, v53, v30 offset0:95 offset1:147
	s_and_saveexec_b64 s[2:3], s[0:1]
	s_cbranch_execz .LBB0_11
; %bb.10:
	s_mov_b32 s4, 0x5040100
	v_perm_b32 v30, v48, v26, s4
	v_perm_b32 v31, v50, v27, s4
	ds_write2_b32 v34, v30, v31 offset0:104 offset1:221
	v_perm_b32 v30, v47, v28, s4
	v_perm_b32 v31, v49, v29, s4
	v_add_u32_e32 v33, 0x400, v34
	ds_write2_b32 v33, v30, v31 offset0:82 offset1:199
.LBB0_11:
	s_or_b64 exec, exec, s[2:3]
	s_waitcnt lgkmcnt(0)
	; wave barrier
	s_waitcnt lgkmcnt(0)
	s_and_saveexec_b64 s[2:3], vcc
	s_cbranch_execz .LBB0_13
; %bb.12:
	global_load_dword v30, v34, s[6:7] offset:1872
	s_add_u32 s4, s6, 0x750
	s_addc_u32 s5, s7, 0
	global_load_dword v33, v34, s[4:5] offset:144
	global_load_dword v61, v34, s[4:5] offset:288
	;; [unrolled: 1-line block ×10, first 2 shown]
	ds_read_b32 v31, v34
	global_load_dword v72, v34, s[4:5] offset:1584
	global_load_dword v73, v34, s[4:5] offset:1728
	v_add_u32_e32 v70, 0x200, v34
	v_add_u32_e32 v71, 0x400, v34
	s_waitcnt lgkmcnt(0)
	v_lshrrev_b32_e32 v51, 16, v31
	s_waitcnt vmcnt(12)
	v_mul_f16_sdwa v52, v51, v30 dst_sel:DWORD dst_unused:UNUSED_PAD src0_sel:DWORD src1_sel:WORD_1
	v_mul_f16_sdwa v53, v31, v30 dst_sel:DWORD dst_unused:UNUSED_PAD src0_sel:DWORD src1_sel:WORD_1
	v_fma_f16 v31, v31, v30, -v52
	v_fma_f16 v30, v51, v30, v53
	v_pack_b32_f16 v30, v31, v30
	ds_write_b32 v34, v30
	ds_read2_b32 v[30:31], v34 offset0:36 offset1:72
	ds_read2_b32 v[51:52], v34 offset0:108 offset1:144
	;; [unrolled: 1-line block ×6, first 2 shown]
	s_waitcnt lgkmcnt(5)
	v_lshrrev_b32_e32 v74, 16, v30
	s_waitcnt vmcnt(11)
	v_mul_f16_sdwa v75, v30, v33 dst_sel:DWORD dst_unused:UNUSED_PAD src0_sel:DWORD src1_sel:WORD_1
	v_lshrrev_b32_e32 v76, 16, v31
	s_waitcnt vmcnt(10)
	v_mul_f16_sdwa v77, v31, v61 dst_sel:DWORD dst_unused:UNUSED_PAD src0_sel:DWORD src1_sel:WORD_1
	s_waitcnt lgkmcnt(4)
	v_lshrrev_b32_e32 v78, 16, v51
	s_waitcnt vmcnt(9)
	v_mul_f16_sdwa v79, v51, v62 dst_sel:DWORD dst_unused:UNUSED_PAD src0_sel:DWORD src1_sel:WORD_1
	v_lshrrev_b32_e32 v80, 16, v52
	s_waitcnt vmcnt(8)
	v_mul_f16_sdwa v81, v52, v63 dst_sel:DWORD dst_unused:UNUSED_PAD src0_sel:DWORD src1_sel:WORD_1
	s_waitcnt lgkmcnt(3)
	v_lshrrev_b32_e32 v82, 16, v53
	s_waitcnt vmcnt(7)
	v_mul_f16_sdwa v83, v53, v64 dst_sel:DWORD dst_unused:UNUSED_PAD src0_sel:DWORD src1_sel:WORD_1
	v_lshrrev_b32_e32 v84, 16, v54
	s_waitcnt vmcnt(6)
	v_mul_f16_sdwa v85, v54, v65 dst_sel:DWORD dst_unused:UNUSED_PAD src0_sel:DWORD src1_sel:WORD_1
	s_waitcnt lgkmcnt(2)
	v_lshrrev_b32_e32 v86, 16, v55
	s_waitcnt vmcnt(5)
	v_mul_f16_sdwa v87, v55, v66 dst_sel:DWORD dst_unused:UNUSED_PAD src0_sel:DWORD src1_sel:WORD_1
	v_lshrrev_b32_e32 v88, 16, v56
	s_waitcnt vmcnt(4)
	v_mul_f16_sdwa v89, v56, v67 dst_sel:DWORD dst_unused:UNUSED_PAD src0_sel:DWORD src1_sel:WORD_1
	s_waitcnt lgkmcnt(1)
	v_lshrrev_b32_e32 v90, 16, v57
	s_waitcnt vmcnt(3)
	v_mul_f16_sdwa v91, v57, v68 dst_sel:DWORD dst_unused:UNUSED_PAD src0_sel:DWORD src1_sel:WORD_1
	v_lshrrev_b32_e32 v92, 16, v58
	v_mul_f16_sdwa v94, v74, v33 dst_sel:DWORD dst_unused:UNUSED_PAD src0_sel:DWORD src1_sel:WORD_1
	v_fma_f16 v74, v74, v33, v75
	v_mul_f16_sdwa v75, v76, v61 dst_sel:DWORD dst_unused:UNUSED_PAD src0_sel:DWORD src1_sel:WORD_1
	s_waitcnt vmcnt(2)
	v_mul_f16_sdwa v93, v58, v69 dst_sel:DWORD dst_unused:UNUSED_PAD src0_sel:DWORD src1_sel:WORD_1
	v_fma_f16 v76, v76, v61, v77
	v_mul_f16_sdwa v77, v78, v62 dst_sel:DWORD dst_unused:UNUSED_PAD src0_sel:DWORD src1_sel:WORD_1
	v_fma_f16 v78, v78, v62, v79
	;; [unrolled: 2-line block ×8, first 2 shown]
	v_mul_f16_sdwa v91, v92, v69 dst_sel:DWORD dst_unused:UNUSED_PAD src0_sel:DWORD src1_sel:WORD_1
	v_fma_f16 v30, v30, v33, -v94
	v_fma_f16 v31, v31, v61, -v75
	v_fma_f16 v92, v92, v69, v93
	v_fma_f16 v33, v51, v62, -v77
	v_fma_f16 v51, v52, v63, -v79
	;; [unrolled: 1-line block ×8, first 2 shown]
	v_pack_b32_f16 v30, v30, v74
	v_pack_b32_f16 v31, v31, v76
	;; [unrolled: 1-line block ×9, first 2 shown]
	ds_write2_b32 v34, v30, v31 offset0:36 offset1:72
	ds_write2_b32 v34, v33, v51 offset0:108 offset1:144
	;; [unrolled: 1-line block ×4, first 2 shown]
	v_pack_b32_f16 v30, v57, v92
	ds_write2_b32 v71, v56, v30 offset0:68 offset1:104
	s_waitcnt lgkmcnt(5)
	v_lshrrev_b32_e32 v30, 16, v59
	s_waitcnt vmcnt(1)
	v_mul_f16_sdwa v31, v30, v72 dst_sel:DWORD dst_unused:UNUSED_PAD src0_sel:DWORD src1_sel:WORD_1
	v_mul_f16_sdwa v33, v59, v72 dst_sel:DWORD dst_unused:UNUSED_PAD src0_sel:DWORD src1_sel:WORD_1
	v_fma_f16 v31, v59, v72, -v31
	v_fma_f16 v30, v30, v72, v33
	v_pack_b32_f16 v30, v31, v30
	v_lshrrev_b32_e32 v31, 16, v60
	s_waitcnt vmcnt(0)
	v_mul_f16_sdwa v33, v31, v73 dst_sel:DWORD dst_unused:UNUSED_PAD src0_sel:DWORD src1_sel:WORD_1
	v_mul_f16_sdwa v51, v60, v73 dst_sel:DWORD dst_unused:UNUSED_PAD src0_sel:DWORD src1_sel:WORD_1
	v_fma_f16 v33, v60, v73, -v33
	v_fma_f16 v31, v31, v73, v51
	v_pack_b32_f16 v31, v33, v31
	ds_write2_b32 v71, v30, v31 offset0:140 offset1:176
.LBB0_13:
	s_or_b64 exec, exec, s[2:3]
	s_waitcnt lgkmcnt(0)
	; wave barrier
	s_waitcnt lgkmcnt(0)
	s_and_saveexec_b64 s[2:3], vcc
	s_cbranch_execz .LBB0_15
; %bb.14:
	v_add_u32_e32 v28, 0x400, v34
	ds_read2_b32 v[18:19], v34 offset1:36
	ds_read2_b32 v[20:21], v34 offset0:72 offset1:108
	ds_read2_b32 v[22:23], v34 offset0:144 offset1:180
	;; [unrolled: 1-line block ×5, first 2 shown]
	ds_read_b32 v36, v34 offset:1728
	s_waitcnt lgkmcnt(6)
	v_lshrrev_b32_e32 v40, 16, v18
	v_lshrrev_b32_e32 v42, 16, v19
	s_waitcnt lgkmcnt(5)
	v_lshrrev_b32_e32 v41, 16, v20
	v_lshrrev_b32_e32 v39, 16, v21
	;; [unrolled: 3-line block ×6, first 2 shown]
	s_waitcnt lgkmcnt(0)
	v_lshrrev_b32_e32 v37, 16, v36
.LBB0_15:
	s_or_b64 exec, exec, s[2:3]
	v_sub_f16_e32 v59, v42, v37
	v_add_f16_e32 v54, v36, v19
	v_add_f16_e32 v62, v37, v42
	s_movk_i32 s4, 0x388b
	v_mul_f16_e32 v65, 0xba95, v59
	v_sub_f16_e32 v63, v41, v49
	v_sub_f16_e32 v55, v19, v36
	s_mov_b32 s15, 0xba95
	v_mul_f16_e32 v68, 0x388b, v62
	v_fma_f16 v30, v54, s4, -v65
	s_mov_b32 s14, 0xb5ac
	v_add_f16_e32 v56, v29, v20
	v_add_f16_e32 v67, v49, v41
	v_mul_f16_e32 v71, 0xbb7b, v63
	v_add_f16_e32 v30, v18, v30
	v_fma_f16 v31, v55, s15, v68
	s_movk_i32 s5, 0x2fb7
	v_mul_f16_e32 v74, 0xbbf1, v59
	s_mov_b32 s17, 0xbb7b
	v_sub_f16_e32 v57, v20, v29
	v_mul_f16_e32 v76, 0xb5ac, v67
	v_fma_f16 v58, v56, s14, -v71
	v_add_f16_e32 v31, v40, v31
	s_mov_b32 s16, 0xbbf1
	v_mul_f16_e32 v78, 0x2fb7, v62
	v_fma_f16 v33, v54, s5, -v74
	v_add_f16_e32 v30, v58, v30
	v_fma_f16 v58, v57, s17, v76
	s_mov_b32 s18, 0xbbc4
	v_mul_f16_e32 v82, 0xb3a8, v63
	v_add_f16_e32 v33, v18, v33
	v_fma_f16 v51, v55, s16, v78
	v_mul_f16_e32 v88, 0xbb7b, v59
	v_add_f16_e32 v31, v58, v31
	s_mov_b32 s20, 0xb3a8
	v_mul_f16_e32 v84, 0xbbc4, v67
	v_fma_f16 v58, v56, s18, -v82
	v_add_f16_e32 v51, v40, v51
	v_mul_f16_e32 v97, 0xb5ac, v62
	v_fma_f16 v52, v54, s14, -v88
	v_add_f16_e32 v33, v58, v33
	v_fma_f16 v58, v57, s20, v84
	s_mov_b32 s19, 0xb9fd
	v_mul_f16_e32 v94, 0x394e, v63
	v_add_f16_e32 v52, v18, v52
	v_fma_f16 v53, v55, s17, v97
	v_add_f16_e32 v51, v58, v51
	s_movk_i32 s22, 0x394e
	v_mul_f16_e32 v103, 0xb9fd, v67
	v_fma_f16 v58, v56, s19, -v94
	v_add_f16_e32 v53, v40, v53
	v_add_f16_e32 v52, v58, v52
	v_fma_f16 v58, v57, s22, v103
	v_sub_f16_e32 v69, v39, v47
	v_add_f16_e32 v53, v58, v53
	v_add_f16_e32 v58, v28, v21
	;; [unrolled: 1-line block ×3, first 2 shown]
	v_mul_f16_e32 v79, 0xb3a8, v69
	v_sub_f16_e32 v60, v21, v28
	v_mul_f16_e32 v83, 0xbbc4, v73
	v_fma_f16 v61, v58, s18, -v79
	v_add_f16_e32 v30, v61, v30
	v_fma_f16 v61, v60, s20, v83
	v_mul_f16_e32 v89, 0x3b7b, v69
	v_add_f16_e32 v31, v61, v31
	s_movk_i32 s23, 0x3b7b
	v_mul_f16_e32 v91, 0xb5ac, v73
	v_fma_f16 v61, v58, s14, -v89
	v_add_f16_e32 v33, v61, v33
	v_fma_f16 v61, v60, s23, v91
	s_movk_i32 s21, 0x3b15
	v_mul_f16_e32 v100, 0x3770, v69
	v_add_f16_e32 v51, v61, v51
	s_movk_i32 s25, 0x3770
	v_mul_f16_e32 v107, 0x3b15, v73
	v_fma_f16 v61, v58, s21, -v100
	v_add_f16_e32 v52, v61, v52
	v_fma_f16 v61, v60, s25, v107
	v_sub_f16_e32 v75, v43, v50
	v_add_f16_e32 v53, v61, v53
	v_add_f16_e32 v61, v27, v22
	;; [unrolled: 1-line block ×3, first 2 shown]
	v_mul_f16_e32 v85, 0x394e, v75
	v_sub_f16_e32 v64, v22, v27
	v_mul_f16_e32 v90, 0xb9fd, v80
	v_fma_f16 v66, v61, s19, -v85
	v_add_f16_e32 v30, v66, v30
	v_fma_f16 v66, v64, s22, v90
	v_mul_f16_e32 v95, 0x3770, v75
	v_add_f16_e32 v31, v66, v31
	v_mul_f16_e32 v99, 0x3b15, v80
	v_fma_f16 v66, v61, s21, -v95
	v_add_f16_e32 v33, v66, v33
	v_fma_f16 v66, v64, s25, v99
	v_mul_f16_e32 v105, 0xbbf1, v75
	v_add_f16_e32 v51, v66, v51
	v_mul_f16_e32 v110, 0x2fb7, v80
	v_fma_f16 v66, v61, s5, -v105
	v_add_f16_e32 v52, v66, v52
	v_fma_f16 v66, v64, s16, v110
	v_sub_f16_e32 v81, v44, v48
	v_add_f16_e32 v53, v66, v53
	v_add_f16_e32 v66, v26, v23
	;; [unrolled: 1-line block ×3, first 2 shown]
	v_mul_f16_e32 v92, 0x3bf1, v81
	v_sub_f16_e32 v70, v23, v26
	s_movk_i32 s26, 0x3bf1
	v_mul_f16_e32 v96, 0x2fb7, v86
	v_fma_f16 v72, v66, s5, -v92
	v_add_f16_e32 v30, v72, v30
	v_fma_f16 v72, v70, s26, v96
	v_mul_f16_e32 v101, 0xba95, v81
	v_add_f16_e32 v106, v72, v31
	v_mul_f16_e32 v104, 0x388b, v86
	v_fma_f16 v31, v66, s4, -v101
	v_add_f16_e32 v33, v31, v33
	v_fma_f16 v31, v70, s15, v104
	v_mul_f16_e32 v108, 0x33a8, v81
	v_add_f16_e32 v111, v31, v51
	s_movk_i32 s27, 0x33a8
	v_mul_f16_e32 v112, 0xbbc4, v86
	v_fma_f16 v31, v66, s18, -v108
	v_sub_f16_e32 v87, v45, v46
	v_add_f16_e32 v114, v31, v52
	v_fma_f16 v31, v70, s27, v112
	v_add_f16_e32 v72, v25, v24
	v_add_f16_e32 v93, v46, v45
	v_mul_f16_e32 v98, 0x3770, v87
	v_add_f16_e32 v53, v31, v53
	v_sub_f16_e32 v77, v24, v25
	v_mul_f16_e32 v102, 0x3b15, v93
	v_fma_f16 v31, v72, s21, -v98
	v_add_f16_e32 v31, v31, v30
	v_fma_f16 v30, v77, s25, v102
	v_add_f16_e32 v51, v30, v106
	v_mul_f16_e32 v106, 0xb94e, v87
	s_mov_b32 s24, 0xb94e
	v_mul_f16_e32 v109, 0xb9fd, v93
	v_fma_f16 v30, v72, s19, -v106
	v_add_f16_e32 v30, v30, v33
	v_fma_f16 v33, v77, s24, v109
	v_add_f16_e32 v52, v33, v111
	v_mul_f16_e32 v111, 0x3a95, v87
	s_movk_i32 s28, 0x3a95
	v_mul_f16_e32 v113, 0x388b, v93
	v_fma_f16 v33, v72, s4, -v111
	v_add_f16_e32 v33, v33, v114
	v_fma_f16 v114, v77, s28, v113
	v_add_f16_e32 v53, v114, v53
	s_waitcnt lgkmcnt(0)
	; wave barrier
	s_and_saveexec_b64 s[2:3], vcc
	s_cbranch_execz .LBB0_17
; %bb.16:
	v_mul_f16_e32 v114, 0xb94e, v55
	v_fma_f16 v115, v62, s19, v114
	v_mul_f16_e32 v116, 0x3bf1, v57
	v_add_f16_e32 v115, v40, v115
	v_fma_f16 v117, v67, s5, v116
	v_add_f16_e32 v115, v117, v115
	v_mul_f16_e32 v117, 0xba95, v60
	v_fma_f16 v118, v73, s4, v117
	v_add_f16_e32 v115, v118, v115
	v_mul_f16_e32 v118, 0x33a8, v64
	;; [unrolled: 3-line block ×5, first 2 shown]
	v_fma_f16 v122, v54, s19, -v121
	v_mul_f16_e32 v123, 0x3bf1, v63
	v_add_f16_e32 v122, v18, v122
	v_fma_f16 v124, v56, s5, -v123
	v_add_f16_e32 v122, v124, v122
	v_mul_f16_e32 v124, 0xba95, v69
	v_fma_f16 v125, v58, s4, -v124
	v_add_f16_e32 v122, v125, v122
	v_mul_f16_e32 v125, 0x33a8, v75
	;; [unrolled: 3-line block ×5, first 2 shown]
	v_fma_f16 v129, v62, s18, v128
	v_mul_f16_e32 v130, 0x3770, v57
	v_add_f16_e32 v129, v40, v129
	v_fma_f16 v131, v67, s21, v130
	v_add_f16_e32 v129, v131, v129
	v_mul_f16_e32 v131, 0xb94e, v60
	v_fma_f16 v132, v73, s19, v131
	v_add_f16_e32 v129, v132, v129
	v_mul_f16_e32 v132, 0x3a95, v64
	;; [unrolled: 3-line block ×4, first 2 shown]
	v_fma_f16 v135, v93, s5, v134
	v_fma_f16 v128, v62, s18, -v128
	v_add_f16_e32 v129, v135, v129
	v_mul_f16_e32 v135, 0xb3a8, v59
	v_add_f16_e32 v128, v40, v128
	v_fma_f16 v130, v67, s21, -v130
	v_fma_f16 v136, v54, s18, -v135
	v_mul_f16_e32 v137, 0x3770, v63
	v_add_f16_e32 v128, v130, v128
	v_fma_f16 v130, v73, s19, -v131
	v_fma_f16 v114, v62, s19, -v114
	v_fma_f16 v121, v54, s19, v121
	v_add_f16_e32 v136, v18, v136
	v_fma_f16 v138, v56, s21, -v137
	v_add_f16_e32 v128, v130, v128
	v_fma_f16 v130, v80, s4, -v132
	;; [unrolled: 2-line block ×3, first 2 shown]
	v_add_f16_e32 v121, v18, v121
	v_fma_f16 v123, v56, s5, v123
	v_add_f16_e32 v136, v138, v136
	v_mul_f16_e32 v138, 0xb94e, v69
	v_add_f16_e32 v128, v130, v128
	v_fma_f16 v130, v86, s14, -v133
	v_add_f16_e32 v114, v116, v114
	v_mul_f16_e32 v116, 0xbb7b, v55
	v_add_f16_e32 v121, v123, v121
	v_fma_f16 v124, v58, s4, v124
	v_fma_f16 v139, v58, s19, -v138
	v_add_f16_e32 v128, v130, v128
	v_fma_f16 v130, v93, s5, -v134
	v_add_f16_e32 v121, v124, v121
	v_mul_f16_e32 v124, 0x394e, v57
	v_sub_f16_e32 v97, v97, v116
	v_add_f16_e32 v136, v139, v136
	v_mul_f16_e32 v139, 0x3a95, v75
	v_add_f16_e32 v128, v130, v128
	v_fma_f16 v130, v54, s18, v135
	v_sub_f16_e32 v103, v103, v124
	v_add_f16_e32 v97, v40, v97
	v_fma_f16 v140, v61, s4, -v139
	v_add_f16_e32 v130, v18, v130
	v_fma_f16 v131, v56, s21, v137
	v_add_f16_e32 v97, v103, v97
	v_mul_f16_e32 v103, 0x3770, v60
	v_add_f16_e32 v136, v140, v136
	v_mul_f16_e32 v140, 0xbb7b, v81
	v_add_f16_e32 v130, v131, v130
	v_fma_f16 v132, v58, s19, v138
	v_sub_f16_e32 v103, v107, v103
	v_fma_f16 v141, v66, s14, -v140
	v_add_f16_e32 v130, v132, v130
	v_fma_f16 v133, v61, s4, v139
	v_add_f16_e32 v97, v103, v97
	v_mul_f16_e32 v103, 0xbbf1, v64
	v_add_f16_e32 v136, v141, v136
	v_mul_f16_e32 v141, 0x3bf1, v87
	v_add_f16_e32 v130, v133, v130
	v_fma_f16 v134, v66, s14, v140
	v_sub_f16_e32 v103, v110, v103
	v_mul_f16_e32 v131, 0x388b, v54
	v_add_f16_e32 v130, v134, v130
	v_fma_f16 v135, v72, s5, v141
	v_fma_f16 v117, v73, s4, -v117
	v_add_f16_e32 v97, v103, v97
	v_mul_f16_e32 v103, 0x33a8, v70
	v_mul_f16_e32 v132, 0xba95, v55
	v_add_f16_e32 v130, v135, v130
	v_mul_f16_e32 v135, 0xb5ac, v54
	v_add_f16_e32 v114, v117, v114
	v_mul_f16_e32 v117, 0xb5ac, v56
	v_fma_f16 v118, v80, s18, -v118
	v_fma_f16 v125, v61, s18, v125
	v_sub_f16_e32 v103, v112, v103
	v_add_f16_e32 v65, v131, v65
	v_add_f16_e32 v114, v118, v114
	v_mul_f16_e32 v118, 0xbb7b, v57
	v_mul_f16_e32 v123, 0xb9fd, v56
	v_add_f16_e32 v121, v125, v121
	v_mul_f16_e32 v125, 0xbbc4, v58
	v_fma_f16 v126, v66, s21, v126
	v_add_f16_e32 v97, v103, v97
	v_mul_f16_e32 v103, 0x3a95, v77
	v_add_f16_e32 v88, v135, v88
	v_sub_f16_e32 v68, v68, v132
	v_add_f16_e32 v65, v18, v65
	v_add_f16_e32 v71, v117, v71
	;; [unrolled: 1-line block ×3, first 2 shown]
	v_mul_f16_e32 v126, 0xb3a8, v60
	v_mul_f16_e32 v124, 0x3b15, v58
	;; [unrolled: 1-line block ×3, first 2 shown]
	v_sub_f16_e32 v103, v113, v103
	v_add_f16_e32 v94, v123, v94
	v_add_f16_e32 v88, v18, v88
	;; [unrolled: 1-line block ×3, first 2 shown]
	v_sub_f16_e32 v76, v76, v118
	v_add_f16_e32 v65, v71, v65
	v_add_f16_e32 v71, v125, v79
	v_mul_f16_e32 v110, 0x394e, v64
	v_add_f16_e32 v97, v103, v97
	v_mul_f16_e32 v103, 0x2fb7, v61
	v_mul_f16_e32 v135, 0x2fb7, v66
	v_add_f16_e32 v88, v94, v88
	v_add_f16_e32 v100, v124, v100
	;; [unrolled: 1-line block ×3, first 2 shown]
	v_sub_f16_e32 v76, v83, v126
	v_add_f16_e32 v65, v71, v65
	v_add_f16_e32 v71, v107, v85
	v_mul_f16_e32 v123, 0x3bf1, v70
	v_add_f16_e32 v88, v100, v88
	v_add_f16_e32 v103, v103, v105
	v_mul_f16_e32 v105, 0x3b15, v72
	v_add_f16_e32 v68, v76, v68
	v_sub_f16_e32 v76, v90, v110
	v_add_f16_e32 v65, v71, v65
	v_add_f16_e32 v71, v135, v92
	;; [unrolled: 1-line block ×3, first 2 shown]
	v_mul_f16_e32 v103, 0x3770, v77
	v_add_f16_e32 v68, v76, v68
	v_sub_f16_e32 v76, v96, v123
	v_add_f16_e32 v65, v71, v65
	v_add_f16_e32 v71, v105, v98
	v_mul_f16_e32 v62, 0x3b15, v62
	v_add_f16_e32 v68, v76, v68
	v_sub_f16_e32 v76, v102, v103
	v_add_f16_e32 v65, v71, v65
	v_fma_f16 v71, v55, s25, v62
	v_mul_f16_e32 v67, 0x388b, v67
	v_add_f16_e32 v68, v76, v68
	v_add_f16_e32 v71, v40, v71
	v_fma_f16 v76, v57, s28, v67
	v_mul_f16_e32 v73, 0x2fb7, v73
	v_add_f16_e32 v71, v76, v71
	v_fma_f16 v76, v60, s26, v73
	v_mul_f16_e32 v133, 0x2fb7, v54
	v_fma_f16 v119, v86, s21, -v119
	v_add_f16_e32 v71, v76, v71
	v_mul_f16_e32 v76, 0xb5ac, v80
	v_add_f16_e32 v114, v119, v114
	v_mul_f16_e32 v119, 0xbbc4, v56
	v_fma_f16 v127, v72, s14, v127
	v_add_f16_e32 v74, v133, v74
	v_fma_f16 v79, v64, s23, v76
	v_add_f16_e32 v121, v127, v121
	v_mul_f16_e32 v127, 0xb5ac, v58
	v_add_f16_e32 v74, v18, v74
	v_add_f16_e32 v82, v119, v82
	;; [unrolled: 1-line block ×3, first 2 shown]
	v_mul_f16_e32 v79, 0xb9fd, v86
	v_add_f16_e32 v19, v19, v18
	v_mul_f16_e32 v112, 0x3b15, v61
	v_add_f16_e32 v74, v82, v74
	v_add_f16_e32 v82, v127, v89
	v_fma_f16 v80, v70, s22, v79
	s_mov_b32 s22, 0xb770
	v_add_f16_e32 v19, v20, v19
	v_mul_f16_e32 v94, 0x388b, v66
	v_mul_f16_e32 v100, 0xbbc4, v66
	v_add_f16_e32 v74, v82, v74
	v_add_f16_e32 v82, v112, v95
	;; [unrolled: 1-line block ×4, first 2 shown]
	v_fma_f16 v21, v55, s22, v62
	v_add_f16_e32 v100, v100, v108
	v_mul_f16_e32 v108, 0xb9fd, v72
	v_add_f16_e32 v74, v82, v74
	v_add_f16_e32 v82, v94, v101
	;; [unrolled: 1-line block ×5, first 2 shown]
	v_fma_f16 v22, v57, s15, v67
	v_add_f16_e32 v74, v82, v74
	v_add_f16_e32 v82, v108, v106
	;; [unrolled: 1-line block ×3, first 2 shown]
	v_mul_f16_e32 v80, 0xbbc4, v93
	v_add_f16_e32 v20, v39, v20
	v_add_f16_e32 v21, v22, v21
	v_fma_f16 v22, v60, s16, v73
	v_mul_f16_e32 v134, 0xbbf1, v55
	v_fma_f16 v120, v93, s14, -v120
	v_add_f16_e32 v74, v82, v74
	v_fma_f16 v82, v77, s27, v80
	v_mul_f16_e32 v59, 0xb770, v59
	v_add_f16_e32 v20, v43, v20
	v_add_f16_e32 v21, v22, v21
	v_fma_f16 v22, v64, s17, v76
	v_add_f16_e32 v114, v120, v114
	v_mul_f16_e32 v120, 0xb3a8, v57
	v_sub_f16_e32 v78, v78, v134
	v_add_f16_e32 v71, v82, v71
	v_fma_f16 v82, v54, s21, v59
	v_mul_f16_e32 v63, 0xba95, v63
	v_add_f16_e32 v19, v23, v19
	v_add_f16_e32 v20, v44, v20
	v_add_f16_e32 v21, v22, v21
	v_fma_f16 v22, v70, s24, v79
	v_mul_f16_e32 v116, 0x3b7b, v60
	v_add_f16_e32 v78, v40, v78
	v_sub_f16_e32 v84, v84, v120
	v_add_f16_e32 v82, v18, v82
	v_fma_f16 v83, v56, s4, v63
	v_mul_f16_e32 v69, 0xbbf1, v69
	v_add_f16_e32 v19, v24, v19
	v_add_f16_e32 v20, v45, v20
	;; [unrolled: 1-line block ×3, first 2 shown]
	v_fma_f16 v22, v77, s20, v80
	v_mul_f16_e32 v113, 0x3770, v64
	v_add_f16_e32 v78, v84, v78
	v_sub_f16_e32 v84, v91, v116
	v_add_f16_e32 v82, v83, v82
	v_fma_f16 v83, v58, s5, v69
	v_mul_f16_e32 v75, 0xbb7b, v75
	v_add_f16_e32 v19, v25, v19
	v_add_f16_e32 v20, v46, v20
	v_add_f16_e32 v21, v22, v21
	v_fma_f16 v22, v54, s21, -v59
	v_mul_f16_e32 v124, 0xba95, v70
	v_add_f16_e32 v88, v100, v88
	v_mul_f16_e32 v100, 0x388b, v72
	v_add_f16_e32 v78, v84, v78
	v_sub_f16_e32 v84, v99, v113
	v_add_f16_e32 v82, v83, v82
	v_fma_f16 v83, v61, s14, v75
	v_mul_f16_e32 v81, 0xb94e, v81
	v_add_f16_e32 v19, v26, v19
	v_add_f16_e32 v20, v48, v20
	;; [unrolled: 1-line block ×3, first 2 shown]
	v_fma_f16 v22, v56, s4, -v63
	v_add_f16_e32 v100, v100, v111
	v_mul_f16_e32 v111, 0xb94e, v77
	v_add_f16_e32 v78, v84, v78
	v_sub_f16_e32 v84, v104, v124
	v_add_f16_e32 v82, v83, v82
	v_fma_f16 v83, v66, s19, v81
	v_add_f16_e32 v19, v27, v19
	v_add_f16_e32 v20, v50, v20
	;; [unrolled: 1-line block ×3, first 2 shown]
	v_fma_f16 v22, v58, s5, -v69
	v_add_f16_e32 v78, v84, v78
	v_sub_f16_e32 v84, v109, v111
	v_add_f16_e32 v82, v83, v82
	v_mul_f16_e32 v83, 0xb3a8, v87
	v_add_f16_e32 v19, v28, v19
	v_add_f16_e32 v20, v47, v20
	;; [unrolled: 1-line block ×3, first 2 shown]
	v_fma_f16 v22, v61, s14, -v75
	v_add_f16_e32 v78, v84, v78
	v_fma_f16 v84, v72, s18, v83
	v_add_f16_e32 v19, v29, v19
	v_add_f16_e32 v20, v49, v20
	;; [unrolled: 1-line block ×3, first 2 shown]
	v_fma_f16 v22, v66, s19, -v81
	v_add_f16_e32 v82, v84, v82
	v_add_f16_e32 v19, v36, v19
	;; [unrolled: 1-line block ×4, first 2 shown]
	v_fma_f16 v22, v72, s18, -v83
	v_add_f16_e32 v18, v22, v18
	v_lshlrev_b32_e32 v22, 2, v32
	v_pack_b32_f16 v23, v82, v71
	v_pack_b32_f16 v19, v19, v20
	v_fma_f16 v142, v72, s5, -v141
	v_add_f16_e32 v88, v100, v88
	ds_write2_b32 v22, v19, v23 offset1:1
	v_pack_b32_f16 v19, v74, v78
	v_pack_b32_f16 v20, v65, v68
	v_add_f16_e32 v136, v142, v136
	ds_write2_b32 v22, v20, v19 offset0:2 offset1:3
	v_pack_b32_f16 v19, v88, v97
	v_pack_b32_f16 v20, v121, v114
	ds_write2_b32 v22, v19, v20 offset0:4 offset1:5
	v_pack_b32_f16 v19, v136, v129
	v_pack_b32_f16 v20, v130, v128
	s_mov_b32 s4, 0x5040100
	ds_write2_b32 v22, v20, v19 offset0:6 offset1:7
	v_pack_b32_f16 v19, v122, v115
	v_perm_b32 v20, v53, v33, s4
	ds_write2_b32 v22, v19, v20 offset0:8 offset1:9
	v_perm_b32 v19, v51, v31, s4
	v_perm_b32 v20, v52, v30, s4
	v_pack_b32_f16 v18, v18, v21
	ds_write2_b32 v22, v20, v19 offset0:10 offset1:11
	ds_write_b32 v22, v18 offset:48
.LBB0_17:
	s_or_b64 exec, exec, s[2:3]
	s_waitcnt lgkmcnt(0)
	; wave barrier
	s_waitcnt lgkmcnt(0)
	ds_read2_b32 v[21:22], v34 offset1:52
	ds_read2_b32 v[23:24], v34 offset0:104 offset1:156
	v_add_u32_e32 v18, 0x200, v34
	ds_read2_b32 v[25:26], v18 offset0:80 offset1:132
	v_add_u32_e32 v19, 0x400, v34
	s_waitcnt lgkmcnt(2)
	v_lshrrev_b32_e32 v20, 16, v22
	ds_read2_b32 v[27:28], v19 offset0:56 offset1:108
	v_mul_f16_sdwa v44, v0, v20 dst_sel:DWORD dst_unused:UNUSED_PAD src0_sel:WORD_1 src1_sel:DWORD
	s_waitcnt lgkmcnt(2)
	v_lshrrev_b32_e32 v32, 16, v23
	v_fma_f16 v44, v0, v22, v44
	v_mul_f16_sdwa v22, v0, v22 dst_sel:DWORD dst_unused:UNUSED_PAD src0_sel:WORD_1 src1_sel:DWORD
	v_lshrrev_b32_e32 v36, 16, v24
	ds_read_b32 v37, v34 offset:1664
	v_fma_f16 v0, v0, v20, -v22
	v_mul_f16_sdwa v20, v1, v32 dst_sel:DWORD dst_unused:UNUSED_PAD src0_sel:WORD_1 src1_sel:DWORD
	v_mul_f16_sdwa v22, v1, v23 dst_sel:DWORD dst_unused:UNUSED_PAD src0_sel:WORD_1 src1_sel:DWORD
	s_waitcnt lgkmcnt(2)
	v_lshrrev_b32_e32 v39, 16, v25
	v_fma_f16 v20, v1, v23, v20
	v_fma_f16 v1, v1, v32, -v22
	v_mul_f16_sdwa v22, v2, v36 dst_sel:DWORD dst_unused:UNUSED_PAD src0_sel:WORD_1 src1_sel:DWORD
	v_mul_f16_sdwa v23, v2, v24 dst_sel:DWORD dst_unused:UNUSED_PAD src0_sel:WORD_1 src1_sel:DWORD
	v_lshrrev_b32_e32 v40, 16, v26
	v_fma_f16 v22, v2, v24, v22
	v_fma_f16 v2, v2, v36, -v23
	v_mul_f16_sdwa v23, v3, v39 dst_sel:DWORD dst_unused:UNUSED_PAD src0_sel:WORD_1 src1_sel:DWORD
	v_mul_f16_sdwa v24, v3, v25 dst_sel:DWORD dst_unused:UNUSED_PAD src0_sel:WORD_1 src1_sel:DWORD
	s_waitcnt lgkmcnt(1)
	v_lshrrev_b32_e32 v41, 16, v27
	v_fma_f16 v23, v3, v25, v23
	v_fma_f16 v3, v3, v39, -v24
	v_mul_f16_sdwa v24, v4, v40 dst_sel:DWORD dst_unused:UNUSED_PAD src0_sel:WORD_1 src1_sel:DWORD
	v_mul_f16_sdwa v25, v4, v26 dst_sel:DWORD dst_unused:UNUSED_PAD src0_sel:WORD_1 src1_sel:DWORD
	v_lshrrev_b32_e32 v42, 16, v28
	v_fma_f16 v24, v4, v26, v24
	v_fma_f16 v4, v4, v40, -v25
	v_mul_f16_sdwa v25, v5, v41 dst_sel:DWORD dst_unused:UNUSED_PAD src0_sel:WORD_1 src1_sel:DWORD
	v_mul_f16_sdwa v26, v5, v27 dst_sel:DWORD dst_unused:UNUSED_PAD src0_sel:WORD_1 src1_sel:DWORD
	s_waitcnt lgkmcnt(0)
	v_lshrrev_b32_e32 v43, 16, v37
	v_fma_f16 v25, v5, v27, v25
	v_fma_f16 v5, v5, v41, -v26
	v_mul_f16_sdwa v26, v6, v42 dst_sel:DWORD dst_unused:UNUSED_PAD src0_sel:WORD_1 src1_sel:DWORD
	v_mul_f16_sdwa v27, v6, v28 dst_sel:DWORD dst_unused:UNUSED_PAD src0_sel:WORD_1 src1_sel:DWORD
	v_fma_f16 v26, v6, v28, v26
	v_fma_f16 v6, v6, v42, -v27
	v_mul_f16_sdwa v27, v7, v43 dst_sel:DWORD dst_unused:UNUSED_PAD src0_sel:WORD_1 src1_sel:DWORD
	v_mul_f16_sdwa v28, v7, v37 dst_sel:DWORD dst_unused:UNUSED_PAD src0_sel:WORD_1 src1_sel:DWORD
	v_fma_f16 v27, v7, v37, v27
	v_fma_f16 v7, v7, v43, -v28
	v_lshrrev_b32_e32 v29, 16, v21
	v_add_f16_e32 v28, v44, v27
	v_add_f16_e32 v36, v0, v7
	v_sub_f16_e32 v27, v44, v27
	v_sub_f16_e32 v0, v0, v7
	s_movk_i32 s5, 0x3a21
	v_add_f16_e32 v37, v20, v26
	v_add_f16_e32 v39, v1, v6
	;; [unrolled: 1-line block ×3, first 2 shown]
	v_sub_f16_e32 v7, v20, v26
	v_sub_f16_e32 v1, v1, v6
	;; [unrolled: 1-line block ×3, first 2 shown]
	v_mul_f16_e32 v5, 0x3924, v27
	v_mul_f16_e32 v20, 0x3924, v0
	s_movk_i32 s2, 0x3be1
	v_fma_f16 v26, v28, s5, v21
	v_fma_f16 v32, v36, s5, v29
	s_movk_i32 s14, 0x318f
	v_add_f16_e32 v40, v22, v25
	v_sub_f16_e32 v6, v22, v25
	v_fma_f16 v5, v7, s2, v5
	v_fma_f16 v20, v1, s2, v20
	s_movk_i32 s3, 0x3aee
	v_fma_f16 v26, v37, s14, v26
	v_fma_f16 v32, v39, s14, v32
	v_fma_f16 v5, v6, s3, v5
	v_fma_f16 v20, v2, s3, v20
	v_sub_f16_e32 v22, v23, v24
	v_sub_f16_e32 v25, v3, v4
	s_movk_i32 s4, 0x3579
	v_fma_f16 v26, v40, -0.5, v26
	v_fma_f16 v32, v41, -0.5, v32
	v_add_f16_e32 v42, v23, v24
	v_add_f16_e32 v43, v3, v4
	s_mov_b32 s15, 0xbb84
	v_fma_f16 v5, v22, s4, v5
	v_fma_f16 v20, v25, s4, v20
	;; [unrolled: 1-line block ×4, first 2 shown]
	v_sub_f16_e32 v26, v26, v20
	v_add_f16_e32 v44, v5, v32
	v_fma_f16 v32, v20, 2.0, v26
	v_fma_f16 v20, v5, -2.0, v44
	v_mul_f16_e32 v5, 0xb924, v22
	v_mul_f16_e32 v45, 0xb924, v25
	v_fma_f16 v5, v27, s2, v5
	v_fma_f16 v45, v0, s2, v45
	s_mov_b32 s2, 0xbaee
	s_mov_b32 s16, 0xb924
	v_fma_f16 v5, v6, s2, v5
	v_add_f16_e32 v48, v22, v27
	v_mul_f16_e32 v22, 0x3be1, v22
	v_fma_f16 v45, v2, s2, v45
	v_fma_f16 v5, v7, s4, v5
	v_add_f16_e32 v49, v25, v0
	v_sub_f16_e32 v48, v48, v7
	v_mul_f16_e32 v25, 0x3be1, v25
	v_fma_f16 v7, v7, s16, -v22
	v_fma_f16 v45, v1, s4, v45
	v_sub_f16_e32 v49, v49, v1
	v_add_f16_e32 v58, v39, v36
	v_fma_f16 v1, v1, s16, -v25
	v_fma_f16 v6, v6, s3, v7
	v_fma_f16 v1, v2, s3, v1
	;; [unrolled: 1-line block ×3, first 2 shown]
	v_add_f16_e32 v6, v41, v58
	v_add_f16_e32 v57, v37, v28
	;; [unrolled: 1-line block ×3, first 2 shown]
	v_fma_f16 v46, v42, s5, v21
	v_fma_f16 v47, v43, s5, v29
	;; [unrolled: 1-line block ×3, first 2 shown]
	v_add_f16_e32 v1, v40, v57
	v_add_f16_e32 v3, v4, v3
	v_fma_f16 v4, v37, s5, v21
	v_fma_f16 v6, v39, s5, v29
	;; [unrolled: 1-line block ×4, first 2 shown]
	v_add_f16_e32 v1, v23, v1
	v_fma_f16 v4, v42, s14, v4
	v_fma_f16 v6, v43, s14, v6
	v_fma_f16 v46, v40, -0.5, v46
	v_fma_f16 v47, v41, -0.5, v47
	v_add_f16_e32 v55, v40, v21
	v_add_f16_e32 v56, v41, v29
	;; [unrolled: 1-line block ×5, first 2 shown]
	v_fma_f16 v4, v40, -0.5, v4
	v_fma_f16 v6, v41, -0.5, v6
	v_fma_f16 v46, v37, s15, v46
	v_fma_f16 v47, v39, s15, v47
	v_fma_f16 v55, v59, -0.5, v55
	v_fma_f16 v56, v60, -0.5, v56
	v_add_f16_e32 v1, v1, v21
	v_add_f16_e32 v3, v3, v29
	v_fma_f16 v4, v28, s15, v4
	v_fma_f16 v6, v36, s15, v6
	v_sub_f16_e32 v46, v46, v45
	v_add_f16_e32 v47, v5, v47
	v_mul_f16_e32 v50, 0x3aee, v48
	v_mul_f16_e32 v54, 0x3aee, v49
	v_fma_f16 v49, v49, s2, v55
	v_fma_f16 v48, v48, s3, v56
	v_sub_f16_e32 v4, v4, v0
	v_add_f16_e32 v6, v2, v6
	v_pack_b32_f16 v1, v1, v3
	v_pack_b32_f16 v3, v26, v44
	v_fma_f16 v0, v0, 2.0, v4
	v_fma_f16 v2, v2, -2.0, v6
	s_waitcnt lgkmcnt(0)
	; wave barrier
	ds_write2_b32 v38, v1, v3 offset1:13
	v_pack_b32_f16 v1, v46, v47
	v_pack_b32_f16 v3, v49, v48
	v_fma_f16 v45, v45, 2.0, v46
	v_fma_f16 v5, v5, -2.0, v47
	v_fma_f16 v54, v54, 2.0, v49
	v_fma_f16 v50, v50, -2.0, v48
	ds_write2_b32 v38, v1, v3 offset0:26 offset1:39
	v_pack_b32_f16 v1, v4, v6
	v_pack_b32_f16 v0, v0, v2
	ds_write2_b32 v38, v1, v0 offset0:52 offset1:65
	v_pack_b32_f16 v0, v54, v50
	v_pack_b32_f16 v1, v45, v5
	ds_write2_b32 v38, v0, v1 offset0:78 offset1:91
	v_pack_b32_f16 v0, v32, v20
	ds_write_b32 v38, v0 offset:416
	s_waitcnt lgkmcnt(0)
	; wave barrier
	s_waitcnt lgkmcnt(0)
	ds_read2_b32 v[0:1], v34 offset1:52
	ds_read2_b32 v[6:7], v34 offset0:117 offset1:169
	ds_read2_b32 v[4:5], v18 offset0:106 offset1:158
	;; [unrolled: 1-line block ×3, first 2 shown]
	s_and_saveexec_b64 s[2:3], s[0:1]
	s_cbranch_execz .LBB0_19
; %bb.18:
	ds_read2_b32 v[32:33], v34 offset0:104 offset1:221
	ds_read2_b32 v[30:31], v19 offset0:82 offset1:199
	s_waitcnt lgkmcnt(1)
	v_lshrrev_b32_e32 v20, 16, v32
	v_lshrrev_b32_e32 v53, 16, v33
	s_waitcnt lgkmcnt(0)
	v_lshrrev_b32_e32 v52, 16, v30
	v_lshrrev_b32_e32 v51, 16, v31
.LBB0_19:
	s_or_b64 exec, exec, s[2:3]
	s_waitcnt lgkmcnt(2)
	v_lshrrev_b32_e32 v22, 16, v6
	v_mul_f16_sdwa v29, v11, v22 dst_sel:DWORD dst_unused:UNUSED_PAD src0_sel:WORD_1 src1_sel:DWORD
	s_waitcnt lgkmcnt(1)
	v_lshrrev_b32_e32 v23, 16, v4
	v_fma_f16 v29, v11, v6, v29
	v_mul_f16_sdwa v6, v11, v6 dst_sel:DWORD dst_unused:UNUSED_PAD src0_sel:WORD_1 src1_sel:DWORD
	v_fma_f16 v6, v11, v22, -v6
	v_mul_f16_sdwa v11, v12, v23 dst_sel:DWORD dst_unused:UNUSED_PAD src0_sel:WORD_1 src1_sel:DWORD
	s_waitcnt lgkmcnt(0)
	v_lshrrev_b32_e32 v24, 16, v2
	v_fma_f16 v11, v12, v4, v11
	v_mul_f16_sdwa v4, v12, v4 dst_sel:DWORD dst_unused:UNUSED_PAD src0_sel:WORD_1 src1_sel:DWORD
	v_fma_f16 v4, v12, v23, -v4
	v_mul_f16_sdwa v12, v13, v24 dst_sel:DWORD dst_unused:UNUSED_PAD src0_sel:WORD_1 src1_sel:DWORD
	v_lshrrev_b32_e32 v26, 16, v7
	v_fma_f16 v12, v13, v2, v12
	v_mul_f16_sdwa v2, v13, v2 dst_sel:DWORD dst_unused:UNUSED_PAD src0_sel:WORD_1 src1_sel:DWORD
	v_fma_f16 v2, v13, v24, -v2
	v_mul_f16_sdwa v13, v14, v26 dst_sel:DWORD dst_unused:UNUSED_PAD src0_sel:WORD_1 src1_sel:DWORD
	;; [unrolled: 5-line block ×4, first 2 shown]
	v_fma_f16 v15, v16, v3, v15
	v_mul_f16_sdwa v3, v16, v3 dst_sel:DWORD dst_unused:UNUSED_PAD src0_sel:WORD_1 src1_sel:DWORD
	v_lshrrev_b32_e32 v21, 16, v0
	v_lshrrev_b32_e32 v25, 16, v1
	v_fma_f16 v3, v16, v28, -v3
	v_sub_f16_e32 v11, v0, v11
	v_sub_f16_e32 v4, v21, v4
	;; [unrolled: 1-line block ×8, first 2 shown]
	v_fma_f16 v0, v0, 2.0, -v11
	v_fma_f16 v16, v21, 2.0, -v4
	;; [unrolled: 1-line block ×8, first 2 shown]
	v_sub_f16_e32 v21, v0, v21
	v_sub_f16_e32 v6, v16, v6
	v_sub_f16_e32 v13, v1, v13
	v_sub_f16_e32 v7, v22, v7
	v_fma_f16 v0, v0, 2.0, -v21
	v_fma_f16 v16, v16, 2.0, -v6
	v_add_f16_e32 v2, v11, v2
	v_sub_f16_e32 v12, v4, v12
	v_fma_f16 v1, v1, 2.0, -v13
	v_fma_f16 v22, v22, 2.0, -v7
	v_add_f16_e32 v3, v14, v3
	v_sub_f16_e32 v15, v5, v15
	v_fma_f16 v11, v11, 2.0, -v2
	v_fma_f16 v4, v4, 2.0, -v12
	;; [unrolled: 1-line block ×4, first 2 shown]
	v_pack_b32_f16 v0, v0, v16
	v_pack_b32_f16 v1, v1, v22
	;; [unrolled: 1-line block ×3, first 2 shown]
	ds_write2_b32 v34, v0, v1 offset1:52
	v_pack_b32_f16 v0, v14, v5
	v_pack_b32_f16 v6, v21, v6
	ds_write2_b32 v34, v4, v0 offset0:117 offset1:169
	v_pack_b32_f16 v0, v13, v7
	v_pack_b32_f16 v2, v2, v12
	ds_write2_b32 v18, v6, v0 offset0:106 offset1:158
	v_pack_b32_f16 v0, v3, v15
	ds_write2_b32 v19, v2, v0 offset0:95 offset1:147
	s_and_saveexec_b64 s[2:3], s[0:1]
	s_cbranch_execz .LBB0_21
; %bb.20:
	v_mul_f16_sdwa v0, v9, v52 dst_sel:DWORD dst_unused:UNUSED_PAD src0_sel:WORD_1 src1_sel:DWORD
	v_mul_f16_sdwa v1, v8, v33 dst_sel:DWORD dst_unused:UNUSED_PAD src0_sel:WORD_1 src1_sel:DWORD
	;; [unrolled: 1-line block ×6, first 2 shown]
	v_fma_f16 v0, v9, v30, v0
	v_fma_f16 v1, v8, v53, -v1
	v_fma_f16 v2, v10, v51, -v2
	;; [unrolled: 1-line block ×3, first 2 shown]
	v_fma_f16 v6, v8, v33, v6
	v_fma_f16 v7, v10, v31, v7
	v_sub_f16_e32 v0, v32, v0
	v_sub_f16_e32 v2, v1, v2
	;; [unrolled: 1-line block ×4, first 2 shown]
	v_add_f16_e32 v3, v0, v2
	v_sub_f16_e32 v8, v5, v7
	v_fma_f16 v4, v0, 2.0, -v3
	v_fma_f16 v9, v5, 2.0, -v8
	v_fma_f16 v0, v32, 2.0, -v0
	v_fma_f16 v6, v6, 2.0, -v7
	v_fma_f16 v5, v20, 2.0, -v5
	v_fma_f16 v1, v1, 2.0, -v2
	v_sub_f16_e32 v6, v0, v6
	v_sub_f16_e32 v1, v5, v1
	v_fma_f16 v0, v0, 2.0, -v6
	v_fma_f16 v2, v5, 2.0, -v1
	v_pack_b32_f16 v0, v0, v2
	v_pack_b32_f16 v2, v4, v9
	ds_write2_b32 v34, v0, v2 offset0:104 offset1:221
	v_pack_b32_f16 v0, v6, v1
	v_pack_b32_f16 v1, v3, v8
	v_add_u32_e32 v2, 0x400, v34
	ds_write2_b32 v2, v0, v1 offset0:82 offset1:199
.LBB0_21:
	s_or_b64 exec, exec, s[2:3]
	s_waitcnt lgkmcnt(0)
	; wave barrier
	s_waitcnt lgkmcnt(0)
	s_and_b64 exec, exec, vcc
	s_cbranch_execz .LBB0_23
; %bb.22:
	global_load_dword v7, v34, s[6:7]
	global_load_dword v6, v34, s[6:7] offset:144
	ds_read_b32 v16, v34
	v_mad_u64_u32 v[12:13], s[0:1], s10, v17, 0
	v_mad_u64_u32 v[2:3], s[0:1], s8, v35, 0
	v_mov_b32_e32 v4, 0x7c00
	v_mad_u64_u32 v[13:14], s[0:1], s11, v17, v[13:14]
	s_waitcnt lgkmcnt(0)
	v_lshrrev_b32_e32 v17, 16, v16
	v_mad_u64_u32 v[14:15], s[0:1], s9, v35, v[3:4]
	ds_read2_b32 v[0:1], v34 offset0:36 offset1:72
	s_mov_b32 s14, 0x11811812
	s_mov_b32 s15, 0x3f618118
	s_movk_i32 s18, 0x1ff
	global_load_dword v8, v34, s[6:7] offset:288
	global_load_dword v9, v34, s[6:7] offset:432
	;; [unrolled: 1-line block ×5, first 2 shown]
	s_waitcnt lgkmcnt(0)
	v_lshrrev_b32_e32 v21, 16, v0
	s_movk_i32 s17, 0xffe
	s_movk_i32 s16, 0x40f
	s_mov_b32 s10, 0x8000
	v_lshlrev_b64 v[12:13], 2, v[12:13]
	s_waitcnt vmcnt(6)
	v_mul_f16_sdwa v3, v17, v7 dst_sel:DWORD dst_unused:UNUSED_PAD src0_sel:DWORD src1_sel:WORD_1
	v_fma_f16 v3, v16, v7, v3
	v_mul_f16_sdwa v15, v16, v7 dst_sel:DWORD dst_unused:UNUSED_PAD src0_sel:DWORD src1_sel:WORD_1
	v_cvt_f32_f16_e32 v3, v3
	v_fma_f16 v7, v7, v17, -v15
	v_cvt_f32_f16_e32 v7, v7
	v_cvt_f64_f32_e32 v[15:16], v3
	s_waitcnt vmcnt(5)
	v_mul_f16_sdwa v3, v21, v6 dst_sel:DWORD dst_unused:UNUSED_PAD src0_sel:DWORD src1_sel:WORD_1
	v_cvt_f64_f32_e32 v[17:18], v7
	v_fma_f16 v3, v0, v6, v3
	v_mul_f64 v[15:16], v[15:16], s[14:15]
	v_cvt_f32_f16_e32 v7, v3
	v_mul_f64 v[17:18], v[17:18], s[14:15]
	v_mov_b32_e32 v3, v14
	v_lshlrev_b64 v[2:3], 2, v[2:3]
	v_cvt_f64_f32_e32 v[19:20], v7
	v_mul_f16_sdwa v0, v0, v6 dst_sel:DWORD dst_unused:UNUSED_PAD src0_sel:DWORD src1_sel:WORD_1
	v_fma_f16 v0, v6, v21, -v0
	v_and_or_b32 v7, v16, s18, v15
	v_cmp_ne_u32_e32 vcc, 0, v7
	v_and_or_b32 v17, v18, s18, v17
	v_lshrrev_b32_e32 v14, 8, v16
	v_bfe_u32 v15, v16, 20, 11
	v_cndmask_b32_e64 v7, 0, 1, vcc
	v_cmp_ne_u32_e32 vcc, 0, v17
	v_lshrrev_b32_e32 v22, 8, v18
	v_bfe_u32 v23, v18, 20, 11
	v_sub_u32_e32 v24, 0x3f1, v15
	v_cndmask_b32_e64 v17, 0, 1, vcc
	v_and_or_b32 v7, v14, s17, v7
	v_sub_u32_e32 v25, 0x3f1, v23
	v_med3_i32 v14, v24, 0, 13
	v_and_or_b32 v17, v22, s17, v17
	v_or_b32_e32 v24, 0x1000, v7
	v_add_u32_e32 v15, 0xfffffc10, v15
	v_med3_i32 v22, v25, 0, 13
	v_cmp_ne_u32_e32 vcc, 0, v7
	v_or_b32_e32 v26, 0x1000, v17
	v_lshrrev_b32_e32 v28, v14, v24
	v_add_u32_e32 v23, 0xfffffc10, v23
	v_lshl_or_b32 v25, v15, 12, v7
	v_cndmask_b32_e64 v7, 0, 1, vcc
	v_cmp_ne_u32_e32 vcc, 0, v17
	v_lshrrev_b32_e32 v29, v22, v26
	v_lshlrev_b32_e32 v14, v14, v28
	v_lshl_or_b32 v27, v23, 12, v17
	v_cndmask_b32_e64 v17, 0, 1, vcc
	v_lshlrev_b32_e32 v22, v22, v29
	v_cmp_ne_u32_e32 vcc, v14, v24
	v_cndmask_b32_e64 v14, 0, 1, vcc
	v_cmp_ne_u32_e32 vcc, v22, v26
	v_cndmask_b32_e64 v22, 0, 1, vcc
	v_or_b32_e32 v14, v28, v14
	v_cmp_gt_i32_e32 vcc, 1, v15
	v_cndmask_b32_e32 v14, v25, v14, vcc
	v_or_b32_e32 v22, v29, v22
	v_cmp_gt_i32_e32 vcc, 1, v23
	v_and_b32_e32 v24, 7, v14
	v_cndmask_b32_e32 v22, v27, v22, vcc
	v_cmp_lt_i32_e32 vcc, 5, v24
	v_cmp_eq_u32_e64 s[0:1], 3, v24
	v_lshrrev_b32_e32 v14, 2, v14
	v_and_b32_e32 v25, 7, v22
	s_or_b64 vcc, s[0:1], vcc
	v_cmp_lt_i32_e64 s[2:3], 5, v25
	v_cmp_eq_u32_e64 s[4:5], 3, v25
	v_addc_co_u32_e32 v14, vcc, 0, v14, vcc
	v_lshrrev_b32_e32 v22, 2, v22
	s_or_b64 vcc, s[4:5], s[2:3]
	v_addc_co_u32_e32 v22, vcc, 0, v22, vcc
	v_cmp_gt_i32_e32 vcc, 31, v15
	v_cndmask_b32_e32 v14, v4, v14, vcc
	v_cmp_gt_i32_e32 vcc, 31, v23
	v_lshl_or_b32 v7, v7, 9, v4
	v_cndmask_b32_e32 v22, v4, v22, vcc
	v_cmp_eq_u32_e32 vcc, s16, v15
	v_lshrrev_b32_e32 v16, 16, v16
	v_lshl_or_b32 v17, v17, 9, v4
	v_cndmask_b32_e32 v7, v14, v7, vcc
	v_cmp_eq_u32_e32 vcc, s16, v23
	v_lshrrev_b32_e32 v18, 16, v18
	v_cndmask_b32_e32 v14, v22, v17, vcc
	v_and_or_b32 v7, v16, s10, v7
	v_and_or_b32 v14, v18, s10, v14
	v_and_b32_e32 v7, 0xffff, v7
	v_lshl_or_b32 v7, v14, 16, v7
	v_mul_f64 v[14:15], v[19:20], s[14:15]
	v_mov_b32_e32 v16, s13
	v_add_co_u32_e32 v12, vcc, s12, v12
	v_addc_co_u32_e32 v13, vcc, v16, v13, vcc
	v_add_co_u32_e32 v2, vcc, v12, v2
	v_addc_co_u32_e32 v3, vcc, v13, v3, vcc
	global_store_dword v[2:3], v7, off
	v_and_or_b32 v7, v15, s18, v14
	v_cmp_ne_u32_e32 vcc, 0, v7
	v_cndmask_b32_e64 v7, 0, 1, vcc
	v_lshrrev_b32_e32 v12, 8, v15
	v_bfe_u32 v13, v15, 20, 11
	v_and_or_b32 v12, v12, s17, v7
	v_sub_u32_e32 v14, 0x3f1, v13
	v_or_b32_e32 v7, 0x1000, v12
	v_med3_i32 v14, v14, 0, 13
	v_lshrrev_b32_e32 v16, v14, v7
	v_lshlrev_b32_e32 v14, v14, v16
	v_cmp_ne_u32_e32 vcc, v14, v7
	v_cndmask_b32_e64 v7, 0, 1, vcc
	v_add_u32_e32 v13, 0xfffffc10, v13
	v_cvt_f32_f16_e32 v0, v0
	v_or_b32_e32 v7, v16, v7
	v_lshl_or_b32 v14, v13, 12, v12
	v_cmp_gt_i32_e32 vcc, 1, v13
	v_cndmask_b32_e32 v7, v14, v7, vcc
	v_and_b32_e32 v14, 7, v7
	v_cmp_lt_i32_e32 vcc, 5, v14
	v_cmp_eq_u32_e64 s[0:1], 3, v14
	v_lshrrev_b32_e32 v14, 2, v7
	v_cvt_f64_f32_e32 v[6:7], v0
	s_or_b64 vcc, s[0:1], vcc
	v_addc_co_u32_e32 v0, vcc, 0, v14, vcc
	v_mul_f64 v[6:7], v[6:7], s[14:15]
	v_cmp_gt_i32_e32 vcc, 31, v13
	v_cndmask_b32_e32 v0, v4, v0, vcc
	v_cmp_ne_u32_e32 vcc, 0, v12
	v_cndmask_b32_e64 v12, 0, 1, vcc
	v_lshl_or_b32 v12, v12, 9, v4
	v_cmp_eq_u32_e32 vcc, s16, v13
	v_cndmask_b32_e32 v0, v0, v12, vcc
	v_and_or_b32 v6, v7, s18, v6
	v_lshrrev_b32_e32 v12, 16, v15
	v_cmp_ne_u32_e32 vcc, 0, v6
	v_and_or_b32 v0, v12, s10, v0
	v_cndmask_b32_e64 v6, 0, 1, vcc
	v_lshrrev_b32_e32 v12, 8, v7
	v_bfe_u32 v13, v7, 20, 11
	v_and_or_b32 v6, v12, s17, v6
	v_sub_u32_e32 v14, 0x3f1, v13
	v_or_b32_e32 v12, 0x1000, v6
	v_med3_i32 v14, v14, 0, 13
	v_lshrrev_b32_e32 v15, v14, v12
	v_lshlrev_b32_e32 v14, v14, v15
	v_cmp_ne_u32_e32 vcc, v14, v12
	v_cndmask_b32_e64 v12, 0, 1, vcc
	v_add_u32_e32 v13, 0xfffffc10, v13
	v_or_b32_e32 v12, v15, v12
	v_lshl_or_b32 v14, v13, 12, v6
	v_cmp_gt_i32_e32 vcc, 1, v13
	v_cndmask_b32_e32 v12, v14, v12, vcc
	v_and_b32_e32 v14, 7, v12
	v_cmp_lt_i32_e32 vcc, 5, v14
	v_cmp_eq_u32_e64 s[0:1], 3, v14
	v_lshrrev_b32_e32 v12, 2, v12
	s_or_b64 vcc, s[0:1], vcc
	v_addc_co_u32_e32 v12, vcc, 0, v12, vcc
	v_cmp_gt_i32_e32 vcc, 31, v13
	v_cndmask_b32_e32 v12, v4, v12, vcc
	v_cmp_ne_u32_e32 vcc, 0, v6
	v_cndmask_b32_e64 v6, 0, 1, vcc
	v_lshl_or_b32 v6, v6, 9, v4
	v_cmp_eq_u32_e32 vcc, s16, v13
	v_cndmask_b32_e32 v6, v12, v6, vcc
	v_lshrrev_b32_e32 v12, 16, v1
	s_waitcnt vmcnt(5)
	v_mul_f16_sdwa v13, v12, v8 dst_sel:DWORD dst_unused:UNUSED_PAD src0_sel:DWORD src1_sel:WORD_1
	v_fma_f16 v13, v1, v8, v13
	v_cvt_f32_f16_e32 v13, v13
	v_lshrrev_b32_e32 v7, 16, v7
	v_and_or_b32 v6, v7, s10, v6
	v_and_b32_e32 v0, 0xffff, v0
	v_lshl_or_b32 v0, v6, 16, v0
	v_cvt_f64_f32_e32 v[6:7], v13
	s_mul_i32 s0, s9, 0x90
	s_mul_hi_u32 s2, s8, 0x90
	s_add_i32 s2, s2, s0
	v_mul_f64 v[6:7], v[6:7], s[14:15]
	s_mul_i32 s3, s8, 0x90
	v_mov_b32_e32 v13, s2
	v_add_co_u32_e32 v2, vcc, s3, v2
	v_addc_co_u32_e32 v3, vcc, v3, v13, vcc
	global_store_dword v[2:3], v0, off
	v_and_or_b32 v0, v7, s18, v6
	v_cmp_ne_u32_e32 vcc, 0, v0
	v_cndmask_b32_e64 v0, 0, 1, vcc
	v_lshrrev_b32_e32 v6, 8, v7
	v_bfe_u32 v13, v7, 20, 11
	v_and_or_b32 v6, v6, s17, v0
	v_sub_u32_e32 v14, 0x3f1, v13
	v_or_b32_e32 v0, 0x1000, v6
	v_med3_i32 v14, v14, 0, 13
	v_lshrrev_b32_e32 v15, v14, v0
	v_mul_f16_sdwa v1, v1, v8 dst_sel:DWORD dst_unused:UNUSED_PAD src0_sel:DWORD src1_sel:WORD_1
	v_lshlrev_b32_e32 v14, v14, v15
	v_fma_f16 v1, v8, v12, -v1
	v_cmp_ne_u32_e32 vcc, v14, v0
	v_cvt_f32_f16_e32 v1, v1
	v_cndmask_b32_e64 v0, 0, 1, vcc
	v_add_u32_e32 v13, 0xfffffc10, v13
	v_or_b32_e32 v0, v15, v0
	v_lshl_or_b32 v14, v13, 12, v6
	v_cmp_gt_i32_e32 vcc, 1, v13
	v_cndmask_b32_e32 v0, v14, v0, vcc
	v_and_b32_e32 v14, 7, v0
	v_lshrrev_b32_e32 v8, 2, v0
	v_cvt_f64_f32_e32 v[0:1], v1
	v_cmp_lt_i32_e32 vcc, 5, v14
	v_cmp_eq_u32_e64 s[0:1], 3, v14
	s_or_b64 vcc, s[0:1], vcc
	v_mul_f64 v[0:1], v[0:1], s[14:15]
	v_addc_co_u32_e32 v8, vcc, 0, v8, vcc
	v_cmp_gt_i32_e32 vcc, 31, v13
	v_cndmask_b32_e32 v8, v4, v8, vcc
	v_cmp_ne_u32_e32 vcc, 0, v6
	v_cndmask_b32_e64 v6, 0, 1, vcc
	v_lshl_or_b32 v6, v6, 9, v4
	v_cmp_eq_u32_e32 vcc, s16, v13
	v_and_or_b32 v0, v1, s18, v0
	v_cndmask_b32_e32 v6, v8, v6, vcc
	v_lshrrev_b32_e32 v7, 16, v7
	v_cmp_ne_u32_e32 vcc, 0, v0
	v_and_or_b32 v8, v7, s10, v6
	v_cndmask_b32_e64 v0, 0, 1, vcc
	v_lshrrev_b32_e32 v6, 8, v1
	v_bfe_u32 v7, v1, 20, 11
	v_and_or_b32 v0, v6, s17, v0
	v_sub_u32_e32 v12, 0x3f1, v7
	v_or_b32_e32 v6, 0x1000, v0
	v_med3_i32 v12, v12, 0, 13
	v_lshrrev_b32_e32 v13, v12, v6
	v_lshlrev_b32_e32 v12, v12, v13
	v_cmp_ne_u32_e32 vcc, v12, v6
	v_cndmask_b32_e64 v6, 0, 1, vcc
	v_add_u32_e32 v12, 0xfffffc10, v7
	v_or_b32_e32 v6, v13, v6
	v_lshl_or_b32 v7, v12, 12, v0
	v_cmp_gt_i32_e32 vcc, 1, v12
	v_cndmask_b32_e32 v6, v7, v6, vcc
	v_and_b32_e32 v7, 7, v6
	v_cmp_lt_i32_e32 vcc, 5, v7
	v_cmp_eq_u32_e64 s[0:1], 3, v7
	v_lshrrev_b32_e32 v6, 2, v6
	s_or_b64 vcc, s[0:1], vcc
	v_addc_co_u32_e32 v13, vcc, 0, v6, vcc
	ds_read2_b32 v[6:7], v34 offset0:108 offset1:144
	v_cmp_gt_i32_e32 vcc, 31, v12
	v_cndmask_b32_e32 v13, v4, v13, vcc
	v_cmp_ne_u32_e32 vcc, 0, v0
	v_cndmask_b32_e64 v0, 0, 1, vcc
	s_waitcnt lgkmcnt(0)
	v_lshrrev_b32_e32 v14, 16, v6
	s_waitcnt vmcnt(5)
	v_mul_f16_sdwa v15, v14, v9 dst_sel:DWORD dst_unused:UNUSED_PAD src0_sel:DWORD src1_sel:WORD_1
	v_fma_f16 v15, v6, v9, v15
	v_cvt_f32_f16_e32 v15, v15
	v_lshl_or_b32 v0, v0, 9, v4
	v_cmp_eq_u32_e32 vcc, s16, v12
	v_cndmask_b32_e32 v0, v13, v0, vcc
	v_cvt_f64_f32_e32 v[12:13], v15
	v_lshrrev_b32_e32 v1, 16, v1
	v_and_or_b32 v15, v1, s10, v0
	v_add_co_u32_e32 v2, vcc, s3, v2
	v_mul_f64 v[0:1], v[12:13], s[14:15]
	v_mov_b32_e32 v12, s2
	v_and_b32_e32 v8, 0xffff, v8
	v_addc_co_u32_e32 v3, vcc, v3, v12, vcc
	v_lshl_or_b32 v8, v15, 16, v8
	global_store_dword v[2:3], v8, off
	v_mul_f16_sdwa v6, v6, v9 dst_sel:DWORD dst_unused:UNUSED_PAD src0_sel:DWORD src1_sel:WORD_1
	v_and_or_b32 v0, v1, s18, v0
	v_cmp_ne_u32_e32 vcc, 0, v0
	v_cndmask_b32_e64 v0, 0, 1, vcc
	v_lshrrev_b32_e32 v8, 8, v1
	v_bfe_u32 v12, v1, 20, 11
	v_and_or_b32 v0, v8, s17, v0
	v_sub_u32_e32 v13, 0x3f1, v12
	v_or_b32_e32 v8, 0x1000, v0
	v_med3_i32 v13, v13, 0, 13
	v_lshrrev_b32_e32 v15, v13, v8
	v_lshlrev_b32_e32 v13, v13, v15
	v_cmp_ne_u32_e32 vcc, v13, v8
	v_fma_f16 v6, v9, v14, -v6
	v_cndmask_b32_e64 v8, 0, 1, vcc
	v_add_u32_e32 v12, 0xfffffc10, v12
	v_cvt_f32_f16_e32 v6, v6
	v_or_b32_e32 v8, v15, v8
	v_lshl_or_b32 v13, v12, 12, v0
	v_cmp_gt_i32_e32 vcc, 1, v12
	v_cndmask_b32_e32 v8, v13, v8, vcc
	v_and_b32_e32 v13, 7, v8
	v_cmp_lt_i32_e32 vcc, 5, v13
	v_cmp_eq_u32_e64 s[0:1], 3, v13
	v_lshrrev_b32_e32 v13, 2, v8
	v_cvt_f64_f32_e32 v[8:9], v6
	s_or_b64 vcc, s[0:1], vcc
	v_addc_co_u32_e32 v6, vcc, 0, v13, vcc
	v_mul_f64 v[8:9], v[8:9], s[14:15]
	v_cmp_gt_i32_e32 vcc, 31, v12
	v_cndmask_b32_e32 v6, v4, v6, vcc
	v_cmp_ne_u32_e32 vcc, 0, v0
	v_cndmask_b32_e64 v0, 0, 1, vcc
	v_lshl_or_b32 v0, v0, 9, v4
	v_cmp_eq_u32_e32 vcc, s16, v12
	v_cndmask_b32_e32 v0, v6, v0, vcc
	v_lshrrev_b32_e32 v1, 16, v1
	v_and_or_b32 v6, v1, s10, v0
	v_and_or_b32 v0, v9, s18, v8
	v_cmp_ne_u32_e32 vcc, 0, v0
	v_cndmask_b32_e64 v0, 0, 1, vcc
	v_lshrrev_b32_e32 v1, 8, v9
	v_bfe_u32 v8, v9, 20, 11
	v_and_or_b32 v0, v1, s17, v0
	v_sub_u32_e32 v12, 0x3f1, v8
	v_or_b32_e32 v1, 0x1000, v0
	v_med3_i32 v12, v12, 0, 13
	v_lshrrev_b32_e32 v13, v12, v1
	v_lshlrev_b32_e32 v12, v12, v13
	v_cmp_ne_u32_e32 vcc, v12, v1
	v_cndmask_b32_e64 v1, 0, 1, vcc
	v_add_u32_e32 v8, 0xfffffc10, v8
	v_or_b32_e32 v1, v13, v1
	v_lshl_or_b32 v12, v8, 12, v0
	v_cmp_gt_i32_e32 vcc, 1, v8
	v_cndmask_b32_e32 v1, v12, v1, vcc
	v_and_b32_e32 v12, 7, v1
	v_cmp_lt_i32_e32 vcc, 5, v12
	v_cmp_eq_u32_e64 s[0:1], 3, v12
	v_lshrrev_b32_e32 v12, 16, v7
	v_lshrrev_b32_e32 v1, 2, v1
	s_or_b64 vcc, s[0:1], vcc
	s_waitcnt vmcnt(5)
	v_mul_f16_sdwa v13, v12, v10 dst_sel:DWORD dst_unused:UNUSED_PAD src0_sel:DWORD src1_sel:WORD_1
	v_addc_co_u32_e32 v1, vcc, 0, v1, vcc
	v_fma_f16 v13, v7, v10, v13
	v_cmp_gt_i32_e32 vcc, 31, v8
	v_cvt_f32_f16_e32 v13, v13
	v_cndmask_b32_e32 v1, v4, v1, vcc
	v_cmp_ne_u32_e32 vcc, 0, v0
	v_cndmask_b32_e64 v0, 0, 1, vcc
	v_lshl_or_b32 v0, v0, 9, v4
	v_cmp_eq_u32_e32 vcc, s16, v8
	v_cndmask_b32_e32 v8, v1, v0, vcc
	v_cvt_f64_f32_e32 v[0:1], v13
	v_lshrrev_b32_e32 v9, 16, v9
	v_and_or_b32 v8, v9, s10, v8
	v_and_b32_e32 v6, 0xffff, v6
	v_mul_f64 v[0:1], v[0:1], s[14:15]
	v_lshl_or_b32 v6, v8, 16, v6
	v_mov_b32_e32 v8, s2
	v_add_co_u32_e32 v2, vcc, s3, v2
	v_addc_co_u32_e32 v3, vcc, v3, v8, vcc
	global_store_dword v[2:3], v6, off
	v_and_or_b32 v0, v1, s18, v0
	v_cmp_ne_u32_e32 vcc, 0, v0
	v_cndmask_b32_e64 v0, 0, 1, vcc
	v_lshrrev_b32_e32 v6, 8, v1
	v_bfe_u32 v8, v1, 20, 11
	v_and_or_b32 v0, v6, s17, v0
	v_sub_u32_e32 v9, 0x3f1, v8
	v_or_b32_e32 v6, 0x1000, v0
	v_med3_i32 v9, v9, 0, 13
	v_lshrrev_b32_e32 v13, v9, v6
	v_lshlrev_b32_e32 v9, v9, v13
	v_mul_f16_sdwa v7, v7, v10 dst_sel:DWORD dst_unused:UNUSED_PAD src0_sel:DWORD src1_sel:WORD_1
	v_cmp_ne_u32_e32 vcc, v9, v6
	v_fma_f16 v7, v10, v12, -v7
	v_cndmask_b32_e64 v6, 0, 1, vcc
	v_add_u32_e32 v8, 0xfffffc10, v8
	v_cvt_f32_f16_e32 v7, v7
	v_or_b32_e32 v6, v13, v6
	v_lshl_or_b32 v9, v8, 12, v0
	v_cmp_gt_i32_e32 vcc, 1, v8
	v_cndmask_b32_e32 v6, v9, v6, vcc
	v_and_b32_e32 v9, 7, v6
	v_cmp_lt_i32_e32 vcc, 5, v9
	v_cmp_eq_u32_e64 s[0:1], 3, v9
	v_lshrrev_b32_e32 v9, 2, v6
	v_cvt_f64_f32_e32 v[6:7], v7
	s_or_b64 vcc, s[0:1], vcc
	v_addc_co_u32_e32 v9, vcc, 0, v9, vcc
	v_mul_f64 v[6:7], v[6:7], s[14:15]
	v_cmp_gt_i32_e32 vcc, 31, v8
	v_cndmask_b32_e32 v9, v4, v9, vcc
	v_cmp_ne_u32_e32 vcc, 0, v0
	v_cndmask_b32_e64 v0, 0, 1, vcc
	v_lshl_or_b32 v0, v0, 9, v4
	v_cmp_eq_u32_e32 vcc, s16, v8
	v_cndmask_b32_e32 v0, v9, v0, vcc
	v_lshrrev_b32_e32 v1, 16, v1
	v_and_or_b32 v10, v1, s10, v0
	v_and_or_b32 v0, v7, s18, v6
	v_cmp_ne_u32_e32 vcc, 0, v0
	v_cndmask_b32_e64 v0, 0, 1, vcc
	v_lshrrev_b32_e32 v1, 8, v7
	v_and_or_b32 v6, v1, s17, v0
	v_bfe_u32 v1, v7, 20, 11
	v_sub_u32_e32 v8, 0x3f1, v1
	v_or_b32_e32 v0, 0x1000, v6
	v_med3_i32 v8, v8, 0, 13
	v_lshrrev_b32_e32 v9, v8, v0
	v_lshlrev_b32_e32 v8, v8, v9
	v_cmp_ne_u32_e32 vcc, v8, v0
	v_cndmask_b32_e64 v0, 0, 1, vcc
	v_add_u32_e32 v8, 0xfffffc10, v1
	v_or_b32_e32 v0, v9, v0
	v_lshl_or_b32 v1, v8, 12, v6
	v_cmp_gt_i32_e32 vcc, 1, v8
	v_cndmask_b32_e32 v0, v1, v0, vcc
	v_and_b32_e32 v1, 7, v0
	v_cmp_lt_i32_e32 vcc, 5, v1
	v_cmp_eq_u32_e64 s[0:1], 3, v1
	v_lshrrev_b32_e32 v0, 2, v0
	s_or_b64 vcc, s[0:1], vcc
	v_addc_co_u32_e32 v9, vcc, 0, v0, vcc
	ds_read2_b32 v[0:1], v34 offset0:180 offset1:216
	v_cmp_gt_i32_e32 vcc, 31, v8
	v_cndmask_b32_e32 v9, v4, v9, vcc
	v_cmp_ne_u32_e32 vcc, 0, v6
	v_cndmask_b32_e64 v6, 0, 1, vcc
	s_waitcnt lgkmcnt(0)
	v_lshrrev_b32_e32 v12, 16, v0
	s_waitcnt vmcnt(5)
	v_mul_f16_sdwa v13, v12, v11 dst_sel:DWORD dst_unused:UNUSED_PAD src0_sel:DWORD src1_sel:WORD_1
	v_fma_f16 v13, v0, v11, v13
	v_cvt_f32_f16_e32 v13, v13
	v_lshl_or_b32 v6, v6, 9, v4
	v_cmp_eq_u32_e32 vcc, s16, v8
	v_cndmask_b32_e32 v6, v9, v6, vcc
	v_cvt_f64_f32_e32 v[8:9], v13
	v_lshrrev_b32_e32 v7, 16, v7
	v_and_or_b32 v13, v7, s10, v6
	v_add_co_u32_e32 v2, vcc, s3, v2
	v_mul_f64 v[6:7], v[8:9], s[14:15]
	v_mov_b32_e32 v9, s2
	v_and_b32_e32 v10, 0xffff, v10
	v_addc_co_u32_e32 v3, vcc, v3, v9, vcc
	v_lshl_or_b32 v8, v13, 16, v10
	global_store_dword v[2:3], v8, off
	v_mul_f16_sdwa v0, v0, v11 dst_sel:DWORD dst_unused:UNUSED_PAD src0_sel:DWORD src1_sel:WORD_1
	v_and_or_b32 v6, v7, s18, v6
	v_cmp_ne_u32_e32 vcc, 0, v6
	v_cndmask_b32_e64 v6, 0, 1, vcc
	v_lshrrev_b32_e32 v8, 8, v7
	v_bfe_u32 v9, v7, 20, 11
	v_and_or_b32 v6, v8, s17, v6
	v_sub_u32_e32 v10, 0x3f1, v9
	v_or_b32_e32 v8, 0x1000, v6
	v_med3_i32 v10, v10, 0, 13
	v_lshrrev_b32_e32 v13, v10, v8
	v_lshlrev_b32_e32 v10, v10, v13
	v_cmp_ne_u32_e32 vcc, v10, v8
	v_fma_f16 v0, v11, v12, -v0
	v_cndmask_b32_e64 v8, 0, 1, vcc
	v_add_u32_e32 v10, 0xfffffc10, v9
	v_cvt_f32_f16_e32 v0, v0
	v_or_b32_e32 v8, v13, v8
	v_lshl_or_b32 v9, v10, 12, v6
	v_cmp_gt_i32_e32 vcc, 1, v10
	v_cndmask_b32_e32 v8, v9, v8, vcc
	v_and_b32_e32 v9, 7, v8
	v_cmp_lt_i32_e32 vcc, 5, v9
	v_cmp_eq_u32_e64 s[0:1], 3, v9
	v_lshrrev_b32_e32 v11, 2, v8
	v_cvt_f64_f32_e32 v[8:9], v0
	s_or_b64 vcc, s[0:1], vcc
	v_addc_co_u32_e32 v0, vcc, 0, v11, vcc
	v_mul_f64 v[8:9], v[8:9], s[14:15]
	v_cmp_gt_i32_e32 vcc, 31, v10
	v_cndmask_b32_e32 v0, v4, v0, vcc
	v_cmp_ne_u32_e32 vcc, 0, v6
	v_cndmask_b32_e64 v6, 0, 1, vcc
	v_lshl_or_b32 v6, v6, 9, v4
	v_cmp_eq_u32_e32 vcc, s16, v10
	v_cndmask_b32_e32 v0, v0, v6, vcc
	v_lshrrev_b32_e32 v6, 16, v7
	v_and_or_b32 v0, v6, s10, v0
	v_and_or_b32 v6, v9, s18, v8
	v_cmp_ne_u32_e32 vcc, 0, v6
	v_cndmask_b32_e64 v6, 0, 1, vcc
	v_lshrrev_b32_e32 v7, 8, v9
	v_bfe_u32 v8, v9, 20, 11
	v_and_or_b32 v6, v7, s17, v6
	v_sub_u32_e32 v10, 0x3f1, v8
	v_or_b32_e32 v7, 0x1000, v6
	v_med3_i32 v10, v10, 0, 13
	v_lshrrev_b32_e32 v11, v10, v7
	v_lshlrev_b32_e32 v10, v10, v11
	v_cmp_ne_u32_e32 vcc, v10, v7
	v_cndmask_b32_e64 v7, 0, 1, vcc
	v_add_u32_e32 v8, 0xfffffc10, v8
	v_or_b32_e32 v7, v11, v7
	v_lshl_or_b32 v10, v8, 12, v6
	v_cmp_gt_i32_e32 vcc, 1, v8
	v_cndmask_b32_e32 v7, v10, v7, vcc
	v_and_b32_e32 v10, 7, v7
	v_cmp_lt_i32_e32 vcc, 5, v10
	v_cmp_eq_u32_e64 s[0:1], 3, v10
	v_lshrrev_b32_e32 v7, 2, v7
	s_or_b64 vcc, s[0:1], vcc
	v_addc_co_u32_e32 v7, vcc, 0, v7, vcc
	v_cmp_gt_i32_e32 vcc, 31, v8
	v_cndmask_b32_e32 v7, v4, v7, vcc
	v_cmp_ne_u32_e32 vcc, 0, v6
	v_cndmask_b32_e64 v6, 0, 1, vcc
	v_lshl_or_b32 v6, v6, 9, v4
	v_cmp_eq_u32_e32 vcc, s16, v8
	v_cndmask_b32_e32 v8, v7, v6, vcc
	v_lshrrev_b32_e32 v9, 16, v9
	v_and_or_b32 v8, v9, s10, v8
	global_load_dword v9, v34, s[6:7] offset:1008
	v_lshrrev_b32_e32 v10, 16, v1
	s_waitcnt vmcnt(6)
	v_mul_f16_sdwa v11, v10, v5 dst_sel:DWORD dst_unused:UNUSED_PAD src0_sel:DWORD src1_sel:WORD_1
	v_fma_f16 v11, v1, v5, v11
	v_cvt_f32_f16_e32 v11, v11
	v_and_b32_e32 v0, 0xffff, v0
	v_lshl_or_b32 v0, v8, 16, v0
	v_mov_b32_e32 v8, s2
	v_cvt_f64_f32_e32 v[6:7], v11
	v_add_co_u32_e32 v2, vcc, s3, v2
	v_addc_co_u32_e32 v3, vcc, v3, v8, vcc
	v_mul_f64 v[6:7], v[6:7], s[14:15]
	global_store_dword v[2:3], v0, off
	v_mul_f16_sdwa v1, v1, v5 dst_sel:DWORD dst_unused:UNUSED_PAD src0_sel:DWORD src1_sel:WORD_1
	v_fma_f16 v1, v5, v10, -v1
	v_cvt_f32_f16_e32 v1, v1
	v_and_or_b32 v0, v7, s18, v6
	v_cmp_ne_u32_e32 vcc, 0, v0
	v_cndmask_b32_e64 v0, 0, 1, vcc
	v_lshrrev_b32_e32 v6, 8, v7
	v_bfe_u32 v8, v7, 20, 11
	v_and_or_b32 v6, v6, s17, v0
	v_sub_u32_e32 v11, 0x3f1, v8
	v_or_b32_e32 v0, 0x1000, v6
	v_med3_i32 v11, v11, 0, 13
	v_lshrrev_b32_e32 v12, v11, v0
	v_lshlrev_b32_e32 v11, v11, v12
	v_cmp_ne_u32_e32 vcc, v11, v0
	v_cndmask_b32_e64 v0, 0, 1, vcc
	v_add_u32_e32 v8, 0xfffffc10, v8
	v_or_b32_e32 v0, v12, v0
	v_lshl_or_b32 v11, v8, 12, v6
	v_cmp_gt_i32_e32 vcc, 1, v8
	v_cndmask_b32_e32 v0, v11, v0, vcc
	v_and_b32_e32 v11, 7, v0
	v_lshrrev_b32_e32 v5, 2, v0
	v_cvt_f64_f32_e32 v[0:1], v1
	v_cmp_lt_i32_e32 vcc, 5, v11
	v_cmp_eq_u32_e64 s[0:1], 3, v11
	s_or_b64 vcc, s[0:1], vcc
	v_mul_f64 v[0:1], v[0:1], s[14:15]
	v_addc_co_u32_e32 v5, vcc, 0, v5, vcc
	v_cmp_gt_i32_e32 vcc, 31, v8
	v_cndmask_b32_e32 v5, v4, v5, vcc
	v_cmp_ne_u32_e32 vcc, 0, v6
	v_cndmask_b32_e64 v6, 0, 1, vcc
	v_lshl_or_b32 v6, v6, 9, v4
	v_cmp_eq_u32_e32 vcc, s16, v8
	v_and_or_b32 v0, v1, s18, v0
	v_cndmask_b32_e32 v5, v5, v6, vcc
	v_lshrrev_b32_e32 v6, 16, v7
	v_cmp_ne_u32_e32 vcc, 0, v0
	v_and_or_b32 v10, v6, s10, v5
	v_cndmask_b32_e64 v0, 0, 1, vcc
	v_lshrrev_b32_e32 v5, 8, v1
	v_bfe_u32 v6, v1, 20, 11
	v_and_or_b32 v0, v5, s17, v0
	v_sub_u32_e32 v7, 0x3f1, v6
	v_or_b32_e32 v5, 0x1000, v0
	v_med3_i32 v7, v7, 0, 13
	v_lshrrev_b32_e32 v8, v7, v5
	v_lshlrev_b32_e32 v7, v7, v8
	v_cmp_ne_u32_e32 vcc, v7, v5
	v_cndmask_b32_e64 v5, 0, 1, vcc
	v_add_u32_e32 v7, 0xfffffc10, v6
	v_or_b32_e32 v5, v8, v5
	v_lshl_or_b32 v6, v7, 12, v0
	v_cmp_gt_i32_e32 vcc, 1, v7
	v_cndmask_b32_e32 v5, v6, v5, vcc
	v_and_b32_e32 v6, 7, v5
	v_cmp_lt_i32_e32 vcc, 5, v6
	v_cmp_eq_u32_e64 s[0:1], 3, v6
	v_lshrrev_b32_e32 v5, 2, v5
	s_or_b64 vcc, s[0:1], vcc
	v_addc_co_u32_e32 v8, vcc, 0, v5, vcc
	v_add_u32_e32 v5, 0x200, v34
	ds_read2_b32 v[5:6], v5 offset0:124 offset1:160
	global_load_dword v12, v34, s[6:7] offset:1152
	global_load_dword v13, v34, s[6:7] offset:1296
	;; [unrolled: 1-line block ×4, first 2 shown]
	v_cmp_gt_i32_e32 vcc, 31, v7
	v_cndmask_b32_e32 v8, v4, v8, vcc
	v_cmp_ne_u32_e32 vcc, 0, v0
	s_waitcnt lgkmcnt(0)
	v_lshrrev_b32_e32 v11, 16, v5
	s_waitcnt vmcnt(5)
	v_mul_f16_sdwa v16, v11, v9 dst_sel:DWORD dst_unused:UNUSED_PAD src0_sel:DWORD src1_sel:WORD_1
	v_fma_f16 v16, v5, v9, v16
	v_cvt_f32_f16_e32 v16, v16
	v_cndmask_b32_e64 v0, 0, 1, vcc
	v_lshl_or_b32 v0, v0, 9, v4
	v_cmp_eq_u32_e32 vcc, s16, v7
	v_cndmask_b32_e32 v0, v8, v0, vcc
	v_cvt_f64_f32_e32 v[7:8], v16
	v_lshrrev_b32_e32 v1, 16, v1
	v_and_or_b32 v16, v1, s10, v0
	v_add_co_u32_e32 v2, vcc, s3, v2
	v_mul_f64 v[0:1], v[7:8], s[14:15]
	v_mov_b32_e32 v8, s2
	v_and_b32_e32 v10, 0xffff, v10
	v_addc_co_u32_e32 v3, vcc, v3, v8, vcc
	v_lshl_or_b32 v7, v16, 16, v10
	global_store_dword v[2:3], v7, off
	v_mul_f16_sdwa v5, v5, v9 dst_sel:DWORD dst_unused:UNUSED_PAD src0_sel:DWORD src1_sel:WORD_1
	v_and_or_b32 v0, v1, s18, v0
	v_cmp_ne_u32_e32 vcc, 0, v0
	v_cndmask_b32_e64 v0, 0, 1, vcc
	v_lshrrev_b32_e32 v7, 8, v1
	v_bfe_u32 v8, v1, 20, 11
	v_and_or_b32 v0, v7, s17, v0
	v_sub_u32_e32 v10, 0x3f1, v8
	v_or_b32_e32 v7, 0x1000, v0
	v_med3_i32 v10, v10, 0, 13
	v_lshrrev_b32_e32 v16, v10, v7
	v_lshlrev_b32_e32 v10, v10, v16
	v_cmp_ne_u32_e32 vcc, v10, v7
	v_fma_f16 v5, v9, v11, -v5
	v_cndmask_b32_e64 v7, 0, 1, vcc
	v_add_u32_e32 v10, 0xfffffc10, v8
	v_cvt_f32_f16_e32 v5, v5
	v_or_b32_e32 v7, v16, v7
	v_lshl_or_b32 v8, v10, 12, v0
	v_cmp_gt_i32_e32 vcc, 1, v10
	v_cndmask_b32_e32 v7, v8, v7, vcc
	v_and_b32_e32 v8, 7, v7
	v_cmp_lt_i32_e32 vcc, 5, v8
	v_cmp_eq_u32_e64 s[0:1], 3, v8
	v_lshrrev_b32_e32 v9, 2, v7
	v_cvt_f64_f32_e32 v[7:8], v5
	s_or_b64 vcc, s[0:1], vcc
	v_addc_co_u32_e32 v5, vcc, 0, v9, vcc
	v_mul_f64 v[7:8], v[7:8], s[14:15]
	v_cmp_gt_i32_e32 vcc, 31, v10
	v_cndmask_b32_e32 v5, v4, v5, vcc
	v_cmp_ne_u32_e32 vcc, 0, v0
	v_cndmask_b32_e64 v0, 0, 1, vcc
	v_lshl_or_b32 v0, v0, 9, v4
	v_cmp_eq_u32_e32 vcc, s16, v10
	v_cndmask_b32_e32 v0, v5, v0, vcc
	v_lshrrev_b32_e32 v1, 16, v1
	v_and_or_b32 v5, v1, s10, v0
	v_and_or_b32 v0, v8, s18, v7
	v_cmp_ne_u32_e32 vcc, 0, v0
	v_cndmask_b32_e64 v0, 0, 1, vcc
	v_lshrrev_b32_e32 v1, 8, v8
	v_bfe_u32 v7, v8, 20, 11
	v_and_or_b32 v0, v1, s17, v0
	v_sub_u32_e32 v9, 0x3f1, v7
	v_or_b32_e32 v1, 0x1000, v0
	v_med3_i32 v9, v9, 0, 13
	v_lshrrev_b32_e32 v10, v9, v1
	v_lshlrev_b32_e32 v9, v9, v10
	v_cmp_ne_u32_e32 vcc, v9, v1
	v_cndmask_b32_e64 v1, 0, 1, vcc
	v_add_u32_e32 v7, 0xfffffc10, v7
	v_or_b32_e32 v1, v10, v1
	v_lshl_or_b32 v9, v7, 12, v0
	v_cmp_gt_i32_e32 vcc, 1, v7
	v_cndmask_b32_e32 v1, v9, v1, vcc
	v_and_b32_e32 v9, 7, v1
	v_cmp_lt_i32_e32 vcc, 5, v9
	v_cmp_eq_u32_e64 s[0:1], 3, v9
	v_lshrrev_b32_e32 v9, 16, v6
	v_lshrrev_b32_e32 v1, 2, v1
	s_or_b64 vcc, s[0:1], vcc
	s_waitcnt vmcnt(4)
	v_mul_f16_sdwa v10, v9, v12 dst_sel:DWORD dst_unused:UNUSED_PAD src0_sel:DWORD src1_sel:WORD_1
	v_addc_co_u32_e32 v1, vcc, 0, v1, vcc
	v_fma_f16 v10, v6, v12, v10
	v_cmp_gt_i32_e32 vcc, 31, v7
	v_cvt_f32_f16_e32 v10, v10
	v_cndmask_b32_e32 v1, v4, v1, vcc
	v_cmp_ne_u32_e32 vcc, 0, v0
	v_cndmask_b32_e64 v0, 0, 1, vcc
	v_lshl_or_b32 v0, v0, 9, v4
	v_cmp_eq_u32_e32 vcc, s16, v7
	v_cndmask_b32_e32 v7, v1, v0, vcc
	v_cvt_f64_f32_e32 v[0:1], v10
	v_lshrrev_b32_e32 v8, 16, v8
	v_and_or_b32 v7, v8, s10, v7
	v_and_b32_e32 v5, 0xffff, v5
	v_mul_f64 v[0:1], v[0:1], s[14:15]
	v_lshl_or_b32 v5, v7, 16, v5
	v_mov_b32_e32 v7, s2
	v_add_co_u32_e32 v2, vcc, s3, v2
	v_addc_co_u32_e32 v3, vcc, v3, v7, vcc
	global_store_dword v[2:3], v5, off
	v_and_or_b32 v0, v1, s18, v0
	v_cmp_ne_u32_e32 vcc, 0, v0
	v_cndmask_b32_e64 v0, 0, 1, vcc
	v_lshrrev_b32_e32 v5, 8, v1
	v_bfe_u32 v7, v1, 20, 11
	v_and_or_b32 v0, v5, s17, v0
	v_sub_u32_e32 v8, 0x3f1, v7
	v_or_b32_e32 v5, 0x1000, v0
	v_med3_i32 v8, v8, 0, 13
	v_lshrrev_b32_e32 v10, v8, v5
	v_lshlrev_b32_e32 v8, v8, v10
	v_mul_f16_sdwa v6, v6, v12 dst_sel:DWORD dst_unused:UNUSED_PAD src0_sel:DWORD src1_sel:WORD_1
	v_cmp_ne_u32_e32 vcc, v8, v5
	v_fma_f16 v6, v12, v9, -v6
	v_cndmask_b32_e64 v5, 0, 1, vcc
	v_add_u32_e32 v7, 0xfffffc10, v7
	v_cvt_f32_f16_e32 v6, v6
	v_or_b32_e32 v5, v10, v5
	v_lshl_or_b32 v8, v7, 12, v0
	v_cmp_gt_i32_e32 vcc, 1, v7
	v_cndmask_b32_e32 v5, v8, v5, vcc
	v_and_b32_e32 v8, 7, v5
	v_cmp_lt_i32_e32 vcc, 5, v8
	v_cmp_eq_u32_e64 s[0:1], 3, v8
	v_lshrrev_b32_e32 v8, 2, v5
	v_cvt_f64_f32_e32 v[5:6], v6
	s_or_b64 vcc, s[0:1], vcc
	v_addc_co_u32_e32 v8, vcc, 0, v8, vcc
	v_mul_f64 v[5:6], v[5:6], s[14:15]
	v_cmp_gt_i32_e32 vcc, 31, v7
	v_cndmask_b32_e32 v8, v4, v8, vcc
	v_cmp_ne_u32_e32 vcc, 0, v0
	v_cndmask_b32_e64 v0, 0, 1, vcc
	v_lshl_or_b32 v0, v0, 9, v4
	v_cmp_eq_u32_e32 vcc, s16, v7
	v_cndmask_b32_e32 v0, v8, v0, vcc
	v_lshrrev_b32_e32 v1, 16, v1
	v_and_or_b32 v9, v1, s10, v0
	v_and_or_b32 v0, v6, s18, v5
	v_cmp_ne_u32_e32 vcc, 0, v0
	v_cndmask_b32_e64 v0, 0, 1, vcc
	v_lshrrev_b32_e32 v1, 8, v6
	v_and_or_b32 v5, v1, s17, v0
	v_bfe_u32 v1, v6, 20, 11
	v_sub_u32_e32 v7, 0x3f1, v1
	v_or_b32_e32 v0, 0x1000, v5
	v_med3_i32 v7, v7, 0, 13
	v_lshrrev_b32_e32 v8, v7, v0
	v_lshlrev_b32_e32 v7, v7, v8
	v_cmp_ne_u32_e32 vcc, v7, v0
	v_cndmask_b32_e64 v0, 0, 1, vcc
	v_add_u32_e32 v7, 0xfffffc10, v1
	v_or_b32_e32 v0, v8, v0
	v_lshl_or_b32 v1, v7, 12, v5
	v_cmp_gt_i32_e32 vcc, 1, v7
	v_cndmask_b32_e32 v0, v1, v0, vcc
	v_and_b32_e32 v1, 7, v0
	v_cmp_lt_i32_e32 vcc, 5, v1
	v_cmp_eq_u32_e64 s[0:1], 3, v1
	v_lshrrev_b32_e32 v0, 2, v0
	s_or_b64 vcc, s[0:1], vcc
	v_add_u32_e32 v10, 0x400, v34
	v_addc_co_u32_e32 v8, vcc, 0, v0, vcc
	ds_read2_b32 v[0:1], v10 offset0:68 offset1:104
	v_cmp_gt_i32_e32 vcc, 31, v7
	v_cndmask_b32_e32 v8, v4, v8, vcc
	v_cmp_ne_u32_e32 vcc, 0, v5
	v_cndmask_b32_e64 v5, 0, 1, vcc
	s_waitcnt lgkmcnt(0)
	v_lshrrev_b32_e32 v11, 16, v0
	s_waitcnt vmcnt(4)
	v_mul_f16_sdwa v12, v11, v13 dst_sel:DWORD dst_unused:UNUSED_PAD src0_sel:DWORD src1_sel:WORD_1
	v_fma_f16 v12, v0, v13, v12
	v_cvt_f32_f16_e32 v12, v12
	v_lshl_or_b32 v5, v5, 9, v4
	v_cmp_eq_u32_e32 vcc, s16, v7
	v_cndmask_b32_e32 v5, v8, v5, vcc
	v_cvt_f64_f32_e32 v[7:8], v12
	v_lshrrev_b32_e32 v6, 16, v6
	v_and_or_b32 v12, v6, s10, v5
	v_add_co_u32_e32 v2, vcc, s3, v2
	v_mul_f64 v[5:6], v[7:8], s[14:15]
	v_mov_b32_e32 v8, s2
	v_and_b32_e32 v9, 0xffff, v9
	v_addc_co_u32_e32 v3, vcc, v3, v8, vcc
	v_lshl_or_b32 v7, v12, 16, v9
	global_store_dword v[2:3], v7, off
	v_mul_f16_sdwa v0, v0, v13 dst_sel:DWORD dst_unused:UNUSED_PAD src0_sel:DWORD src1_sel:WORD_1
	v_and_or_b32 v5, v6, s18, v5
	v_cmp_ne_u32_e32 vcc, 0, v5
	v_cndmask_b32_e64 v5, 0, 1, vcc
	v_lshrrev_b32_e32 v7, 8, v6
	v_bfe_u32 v8, v6, 20, 11
	v_and_or_b32 v5, v7, s17, v5
	v_sub_u32_e32 v9, 0x3f1, v8
	v_or_b32_e32 v7, 0x1000, v5
	v_med3_i32 v9, v9, 0, 13
	v_lshrrev_b32_e32 v12, v9, v7
	v_lshlrev_b32_e32 v9, v9, v12
	v_cmp_ne_u32_e32 vcc, v9, v7
	v_fma_f16 v0, v13, v11, -v0
	v_cndmask_b32_e64 v7, 0, 1, vcc
	v_add_u32_e32 v9, 0xfffffc10, v8
	v_cvt_f32_f16_e32 v0, v0
	v_or_b32_e32 v7, v12, v7
	v_lshl_or_b32 v8, v9, 12, v5
	v_cmp_gt_i32_e32 vcc, 1, v9
	v_cndmask_b32_e32 v7, v8, v7, vcc
	v_and_b32_e32 v8, 7, v7
	v_cmp_lt_i32_e32 vcc, 5, v8
	v_cmp_eq_u32_e64 s[0:1], 3, v8
	v_lshrrev_b32_e32 v11, 2, v7
	v_cvt_f64_f32_e32 v[7:8], v0
	s_or_b64 vcc, s[0:1], vcc
	v_addc_co_u32_e32 v0, vcc, 0, v11, vcc
	v_mul_f64 v[7:8], v[7:8], s[14:15]
	v_cmp_gt_i32_e32 vcc, 31, v9
	v_cndmask_b32_e32 v0, v4, v0, vcc
	v_cmp_ne_u32_e32 vcc, 0, v5
	v_cndmask_b32_e64 v5, 0, 1, vcc
	v_lshl_or_b32 v5, v5, 9, v4
	v_cmp_eq_u32_e32 vcc, s16, v9
	v_cndmask_b32_e32 v0, v0, v5, vcc
	v_lshrrev_b32_e32 v5, 16, v6
	v_and_or_b32 v0, v5, s10, v0
	v_and_or_b32 v5, v8, s18, v7
	v_cmp_ne_u32_e32 vcc, 0, v5
	v_cndmask_b32_e64 v5, 0, 1, vcc
	v_lshrrev_b32_e32 v6, 8, v8
	v_bfe_u32 v7, v8, 20, 11
	v_and_or_b32 v5, v6, s17, v5
	v_sub_u32_e32 v9, 0x3f1, v7
	v_or_b32_e32 v6, 0x1000, v5
	v_med3_i32 v9, v9, 0, 13
	v_lshrrev_b32_e32 v11, v9, v6
	v_lshlrev_b32_e32 v9, v9, v11
	v_cmp_ne_u32_e32 vcc, v9, v6
	v_cndmask_b32_e64 v6, 0, 1, vcc
	v_add_u32_e32 v7, 0xfffffc10, v7
	v_or_b32_e32 v6, v11, v6
	v_lshl_or_b32 v9, v7, 12, v5
	v_cmp_gt_i32_e32 vcc, 1, v7
	v_cndmask_b32_e32 v6, v9, v6, vcc
	v_and_b32_e32 v9, 7, v6
	v_cmp_lt_i32_e32 vcc, 5, v9
	v_cmp_eq_u32_e64 s[0:1], 3, v9
	v_lshrrev_b32_e32 v9, 16, v1
	v_lshrrev_b32_e32 v6, 2, v6
	s_or_b64 vcc, s[0:1], vcc
	s_waitcnt vmcnt(4)
	v_mul_f16_sdwa v11, v9, v14 dst_sel:DWORD dst_unused:UNUSED_PAD src0_sel:DWORD src1_sel:WORD_1
	v_addc_co_u32_e32 v6, vcc, 0, v6, vcc
	v_fma_f16 v11, v1, v14, v11
	v_cmp_gt_i32_e32 vcc, 31, v7
	v_cvt_f32_f16_e32 v11, v11
	v_cndmask_b32_e32 v6, v4, v6, vcc
	v_cmp_ne_u32_e32 vcc, 0, v5
	v_cndmask_b32_e64 v5, 0, 1, vcc
	v_lshl_or_b32 v5, v5, 9, v4
	v_cmp_eq_u32_e32 vcc, s16, v7
	v_cndmask_b32_e32 v7, v6, v5, vcc
	v_cvt_f64_f32_e32 v[5:6], v11
	v_lshrrev_b32_e32 v8, 16, v8
	v_and_or_b32 v7, v8, s10, v7
	v_and_b32_e32 v0, 0xffff, v0
	v_mul_f64 v[5:6], v[5:6], s[14:15]
	v_lshl_or_b32 v0, v7, 16, v0
	v_mov_b32_e32 v7, s2
	v_add_co_u32_e32 v2, vcc, s3, v2
	v_addc_co_u32_e32 v3, vcc, v3, v7, vcc
	global_store_dword v[2:3], v0, off
	v_and_or_b32 v0, v6, s18, v5
	v_cmp_ne_u32_e32 vcc, 0, v0
	v_cndmask_b32_e64 v0, 0, 1, vcc
	v_lshrrev_b32_e32 v5, 8, v6
	v_bfe_u32 v7, v6, 20, 11
	v_and_or_b32 v5, v5, s17, v0
	v_sub_u32_e32 v8, 0x3f1, v7
	v_or_b32_e32 v0, 0x1000, v5
	v_med3_i32 v8, v8, 0, 13
	v_lshrrev_b32_e32 v11, v8, v0
	v_lshlrev_b32_e32 v8, v8, v11
	v_mul_f16_sdwa v1, v1, v14 dst_sel:DWORD dst_unused:UNUSED_PAD src0_sel:DWORD src1_sel:WORD_1
	v_cmp_ne_u32_e32 vcc, v8, v0
	v_fma_f16 v1, v14, v9, -v1
	v_cndmask_b32_e64 v0, 0, 1, vcc
	v_add_u32_e32 v7, 0xfffffc10, v7
	v_cvt_f32_f16_e32 v1, v1
	v_or_b32_e32 v0, v11, v0
	v_lshl_or_b32 v8, v7, 12, v5
	v_cmp_gt_i32_e32 vcc, 1, v7
	v_cndmask_b32_e32 v0, v8, v0, vcc
	v_and_b32_e32 v8, 7, v0
	v_cmp_lt_i32_e32 vcc, 5, v8
	v_cmp_eq_u32_e64 s[0:1], 3, v8
	v_lshrrev_b32_e32 v8, 2, v0
	v_cvt_f64_f32_e32 v[0:1], v1
	s_or_b64 vcc, s[0:1], vcc
	v_addc_co_u32_e32 v8, vcc, 0, v8, vcc
	v_mul_f64 v[0:1], v[0:1], s[14:15]
	v_cmp_gt_i32_e32 vcc, 31, v7
	v_cndmask_b32_e32 v8, v4, v8, vcc
	v_cmp_ne_u32_e32 vcc, 0, v5
	v_cndmask_b32_e64 v5, 0, 1, vcc
	v_lshl_or_b32 v5, v5, 9, v4
	v_cmp_eq_u32_e32 vcc, s16, v7
	v_cndmask_b32_e32 v5, v8, v5, vcc
	v_and_or_b32 v0, v1, s18, v0
	v_lshrrev_b32_e32 v6, 16, v6
	v_cmp_ne_u32_e32 vcc, 0, v0
	v_and_or_b32 v9, v6, s10, v5
	v_cndmask_b32_e64 v0, 0, 1, vcc
	v_lshrrev_b32_e32 v5, 8, v1
	v_bfe_u32 v6, v1, 20, 11
	v_and_or_b32 v0, v5, s17, v0
	v_sub_u32_e32 v7, 0x3f1, v6
	v_or_b32_e32 v5, 0x1000, v0
	v_med3_i32 v7, v7, 0, 13
	v_lshrrev_b32_e32 v8, v7, v5
	v_lshlrev_b32_e32 v7, v7, v8
	v_cmp_ne_u32_e32 vcc, v7, v5
	v_cndmask_b32_e64 v5, 0, 1, vcc
	v_add_u32_e32 v7, 0xfffffc10, v6
	v_or_b32_e32 v5, v8, v5
	v_lshl_or_b32 v6, v7, 12, v0
	v_cmp_gt_i32_e32 vcc, 1, v7
	v_cndmask_b32_e32 v5, v6, v5, vcc
	v_and_b32_e32 v6, 7, v5
	v_cmp_lt_i32_e32 vcc, 5, v6
	v_cmp_eq_u32_e64 s[0:1], 3, v6
	v_lshrrev_b32_e32 v5, 2, v5
	s_or_b64 vcc, s[0:1], vcc
	v_addc_co_u32_e32 v8, vcc, 0, v5, vcc
	ds_read2_b32 v[5:6], v10 offset0:140 offset1:176
	v_cmp_gt_i32_e32 vcc, 31, v7
	v_cndmask_b32_e32 v8, v4, v8, vcc
	v_cmp_ne_u32_e32 vcc, 0, v0
	v_cndmask_b32_e64 v0, 0, 1, vcc
	s_waitcnt lgkmcnt(0)
	v_lshrrev_b32_e32 v10, 16, v5
	s_waitcnt vmcnt(4)
	v_mul_f16_sdwa v11, v10, v15 dst_sel:DWORD dst_unused:UNUSED_PAD src0_sel:DWORD src1_sel:WORD_1
	v_fma_f16 v11, v5, v15, v11
	v_cvt_f32_f16_e32 v11, v11
	v_lshl_or_b32 v0, v0, 9, v4
	v_cmp_eq_u32_e32 vcc, s16, v7
	v_cndmask_b32_e32 v0, v8, v0, vcc
	v_cvt_f64_f32_e32 v[7:8], v11
	v_lshrrev_b32_e32 v1, 16, v1
	v_and_or_b32 v11, v1, s10, v0
	v_add_co_u32_e32 v2, vcc, s3, v2
	v_mul_f64 v[0:1], v[7:8], s[14:15]
	v_mov_b32_e32 v8, s2
	v_and_b32_e32 v9, 0xffff, v9
	v_addc_co_u32_e32 v3, vcc, v3, v8, vcc
	v_lshl_or_b32 v7, v11, 16, v9
	global_store_dword v[2:3], v7, off
	v_mul_f16_sdwa v5, v5, v15 dst_sel:DWORD dst_unused:UNUSED_PAD src0_sel:DWORD src1_sel:WORD_1
	v_and_or_b32 v0, v1, s18, v0
	v_cmp_ne_u32_e32 vcc, 0, v0
	v_cndmask_b32_e64 v0, 0, 1, vcc
	v_lshrrev_b32_e32 v7, 8, v1
	v_bfe_u32 v8, v1, 20, 11
	v_and_or_b32 v0, v7, s17, v0
	v_sub_u32_e32 v9, 0x3f1, v8
	v_or_b32_e32 v7, 0x1000, v0
	v_med3_i32 v9, v9, 0, 13
	v_lshrrev_b32_e32 v11, v9, v7
	v_lshlrev_b32_e32 v9, v9, v11
	v_cmp_ne_u32_e32 vcc, v9, v7
	v_fma_f16 v5, v15, v10, -v5
	v_cndmask_b32_e64 v7, 0, 1, vcc
	v_add_u32_e32 v9, 0xfffffc10, v8
	v_cvt_f32_f16_e32 v5, v5
	v_or_b32_e32 v7, v11, v7
	v_lshl_or_b32 v8, v9, 12, v0
	v_cmp_gt_i32_e32 vcc, 1, v9
	v_cndmask_b32_e32 v7, v8, v7, vcc
	v_and_b32_e32 v8, 7, v7
	v_cmp_lt_i32_e32 vcc, 5, v8
	v_cmp_eq_u32_e64 s[0:1], 3, v8
	v_lshrrev_b32_e32 v10, 2, v7
	v_cvt_f64_f32_e32 v[7:8], v5
	s_or_b64 vcc, s[0:1], vcc
	v_addc_co_u32_e32 v5, vcc, 0, v10, vcc
	v_mul_f64 v[7:8], v[7:8], s[14:15]
	v_cmp_gt_i32_e32 vcc, 31, v9
	v_cndmask_b32_e32 v5, v4, v5, vcc
	v_cmp_ne_u32_e32 vcc, 0, v0
	v_cndmask_b32_e64 v0, 0, 1, vcc
	v_lshl_or_b32 v0, v0, 9, v4
	v_cmp_eq_u32_e32 vcc, s16, v9
	v_cndmask_b32_e32 v0, v5, v0, vcc
	v_lshrrev_b32_e32 v1, 16, v1
	v_and_or_b32 v0, v1, s10, v0
	v_and_or_b32 v1, v8, s18, v7
	v_cmp_ne_u32_e32 vcc, 0, v1
	v_cndmask_b32_e64 v1, 0, 1, vcc
	v_lshrrev_b32_e32 v5, 8, v8
	v_bfe_u32 v7, v8, 20, 11
	v_and_or_b32 v1, v5, s17, v1
	v_sub_u32_e32 v9, 0x3f1, v7
	v_or_b32_e32 v5, 0x1000, v1
	v_med3_i32 v9, v9, 0, 13
	v_lshrrev_b32_e32 v10, v9, v5
	v_lshlrev_b32_e32 v9, v9, v10
	v_cmp_ne_u32_e32 vcc, v9, v5
	v_cndmask_b32_e64 v5, 0, 1, vcc
	v_add_u32_e32 v7, 0xfffffc10, v7
	v_or_b32_e32 v5, v10, v5
	v_lshl_or_b32 v9, v7, 12, v1
	v_cmp_gt_i32_e32 vcc, 1, v7
	v_cndmask_b32_e32 v5, v9, v5, vcc
	v_and_b32_e32 v9, 7, v5
	v_cmp_lt_i32_e32 vcc, 5, v9
	v_cmp_eq_u32_e64 s[0:1], 3, v9
	v_lshrrev_b32_e32 v5, 2, v5
	s_or_b64 vcc, s[0:1], vcc
	v_addc_co_u32_e32 v5, vcc, 0, v5, vcc
	v_cmp_gt_i32_e32 vcc, 31, v7
	v_cndmask_b32_e32 v5, v4, v5, vcc
	v_cmp_ne_u32_e32 vcc, 0, v1
	v_cndmask_b32_e64 v1, 0, 1, vcc
	v_lshl_or_b32 v1, v1, 9, v4
	v_cmp_eq_u32_e32 vcc, s16, v7
	v_cndmask_b32_e32 v1, v5, v1, vcc
	v_lshrrev_b32_e32 v5, 16, v8
	v_and_or_b32 v1, v5, s10, v1
	v_and_b32_e32 v0, 0xffff, v0
	v_lshl_or_b32 v5, v1, 16, v0
	v_mov_b32_e32 v1, s2
	v_add_co_u32_e32 v0, vcc, s3, v2
	v_addc_co_u32_e32 v1, vcc, v3, v1, vcc
	global_store_dword v[0:1], v5, off
	global_load_dword v5, v34, s[6:7] offset:1728
	v_lshrrev_b32_e32 v7, 16, v6
	s_waitcnt vmcnt(0)
	v_mul_f16_sdwa v2, v7, v5 dst_sel:DWORD dst_unused:UNUSED_PAD src0_sel:DWORD src1_sel:WORD_1
	v_fma_f16 v2, v6, v5, v2
	v_cvt_f32_f16_e32 v2, v2
	v_mul_f16_sdwa v6, v6, v5 dst_sel:DWORD dst_unused:UNUSED_PAD src0_sel:DWORD src1_sel:WORD_1
	v_fma_f16 v5, v5, v7, -v6
	v_cvt_f32_f16_e32 v5, v5
	v_cvt_f64_f32_e32 v[2:3], v2
	v_cvt_f64_f32_e32 v[5:6], v5
	v_mul_f64 v[2:3], v[2:3], s[14:15]
	v_mul_f64 v[5:6], v[5:6], s[14:15]
	v_and_or_b32 v2, v3, s18, v2
	v_cmp_ne_u32_e32 vcc, 0, v2
	v_cndmask_b32_e64 v2, 0, 1, vcc
	v_lshrrev_b32_e32 v8, 8, v3
	v_bfe_u32 v9, v3, 20, 11
	v_and_or_b32 v2, v8, s17, v2
	v_sub_u32_e32 v10, 0x3f1, v9
	v_or_b32_e32 v8, 0x1000, v2
	v_med3_i32 v10, v10, 0, 13
	v_lshrrev_b32_e32 v11, v10, v8
	v_lshlrev_b32_e32 v10, v10, v11
	v_cmp_ne_u32_e32 vcc, v10, v8
	v_cndmask_b32_e64 v8, 0, 1, vcc
	v_add_u32_e32 v9, 0xfffffc10, v9
	v_or_b32_e32 v8, v11, v8
	v_lshl_or_b32 v10, v9, 12, v2
	v_cmp_gt_i32_e32 vcc, 1, v9
	v_cndmask_b32_e32 v8, v10, v8, vcc
	v_and_b32_e32 v10, 7, v8
	v_cmp_lt_i32_e32 vcc, 5, v10
	v_cmp_eq_u32_e64 s[0:1], 3, v10
	v_lshrrev_b32_e32 v7, 2, v8
	s_or_b64 vcc, s[0:1], vcc
	v_addc_co_u32_e32 v7, vcc, 0, v7, vcc
	v_cmp_gt_i32_e32 vcc, 31, v9
	v_cndmask_b32_e32 v7, v4, v7, vcc
	v_cmp_ne_u32_e32 vcc, 0, v2
	v_cndmask_b32_e64 v2, 0, 1, vcc
	v_lshl_or_b32 v2, v2, 9, v4
	v_cmp_eq_u32_e32 vcc, s16, v9
	v_cndmask_b32_e32 v2, v7, v2, vcc
	v_lshrrev_b32_e32 v3, 16, v3
	v_and_or_b32 v2, v3, s10, v2
	v_and_or_b32 v3, v6, s18, v5
	v_cmp_ne_u32_e32 vcc, 0, v3
	v_cndmask_b32_e64 v3, 0, 1, vcc
	v_lshrrev_b32_e32 v5, 8, v6
	v_bfe_u32 v7, v6, 20, 11
	v_and_or_b32 v3, v5, s17, v3
	v_sub_u32_e32 v8, 0x3f1, v7
	v_or_b32_e32 v5, 0x1000, v3
	v_med3_i32 v8, v8, 0, 13
	v_lshrrev_b32_e32 v9, v8, v5
	v_lshlrev_b32_e32 v8, v8, v9
	v_cmp_ne_u32_e32 vcc, v8, v5
	v_cndmask_b32_e64 v5, 0, 1, vcc
	v_add_u32_e32 v7, 0xfffffc10, v7
	v_or_b32_e32 v5, v9, v5
	v_lshl_or_b32 v8, v7, 12, v3
	v_cmp_gt_i32_e32 vcc, 1, v7
	v_cndmask_b32_e32 v5, v8, v5, vcc
	v_and_b32_e32 v8, 7, v5
	v_cmp_lt_i32_e32 vcc, 5, v8
	v_cmp_eq_u32_e64 s[0:1], 3, v8
	v_lshrrev_b32_e32 v5, 2, v5
	s_or_b64 vcc, s[0:1], vcc
	v_addc_co_u32_e32 v5, vcc, 0, v5, vcc
	v_cmp_gt_i32_e32 vcc, 31, v7
	v_cndmask_b32_e32 v5, v4, v5, vcc
	v_cmp_ne_u32_e32 vcc, 0, v3
	v_cndmask_b32_e64 v3, 0, 1, vcc
	v_lshl_or_b32 v3, v3, 9, v4
	v_cmp_eq_u32_e32 vcc, s16, v7
	v_cndmask_b32_e32 v3, v5, v3, vcc
	v_lshrrev_b32_e32 v4, 16, v6
	v_and_or_b32 v3, v4, s10, v3
	v_and_b32_e32 v2, 0xffff, v2
	v_lshl_or_b32 v2, v3, 16, v2
	v_mov_b32_e32 v3, s2
	v_add_co_u32_e32 v0, vcc, s3, v0
	v_addc_co_u32_e32 v1, vcc, v1, v3, vcc
	global_store_dword v[0:1], v2, off
.LBB0_23:
	s_endpgm
	.section	.rodata,"a",@progbits
	.p2align	6, 0x0
	.amdhsa_kernel bluestein_single_back_len468_dim1_half_op_CI_CI
		.amdhsa_group_segment_fixed_size 1872
		.amdhsa_private_segment_fixed_size 0
		.amdhsa_kernarg_size 104
		.amdhsa_user_sgpr_count 6
		.amdhsa_user_sgpr_private_segment_buffer 1
		.amdhsa_user_sgpr_dispatch_ptr 0
		.amdhsa_user_sgpr_queue_ptr 0
		.amdhsa_user_sgpr_kernarg_segment_ptr 1
		.amdhsa_user_sgpr_dispatch_id 0
		.amdhsa_user_sgpr_flat_scratch_init 0
		.amdhsa_user_sgpr_private_segment_size 0
		.amdhsa_uses_dynamic_stack 0
		.amdhsa_system_sgpr_private_segment_wavefront_offset 0
		.amdhsa_system_sgpr_workgroup_id_x 1
		.amdhsa_system_sgpr_workgroup_id_y 0
		.amdhsa_system_sgpr_workgroup_id_z 0
		.amdhsa_system_sgpr_workgroup_info 0
		.amdhsa_system_vgpr_workitem_id 0
		.amdhsa_next_free_vgpr 143
		.amdhsa_next_free_sgpr 32
		.amdhsa_reserve_vcc 1
		.amdhsa_reserve_flat_scratch 0
		.amdhsa_float_round_mode_32 0
		.amdhsa_float_round_mode_16_64 0
		.amdhsa_float_denorm_mode_32 3
		.amdhsa_float_denorm_mode_16_64 3
		.amdhsa_dx10_clamp 1
		.amdhsa_ieee_mode 1
		.amdhsa_fp16_overflow 0
		.amdhsa_exception_fp_ieee_invalid_op 0
		.amdhsa_exception_fp_denorm_src 0
		.amdhsa_exception_fp_ieee_div_zero 0
		.amdhsa_exception_fp_ieee_overflow 0
		.amdhsa_exception_fp_ieee_underflow 0
		.amdhsa_exception_fp_ieee_inexact 0
		.amdhsa_exception_int_div_zero 0
	.end_amdhsa_kernel
	.text
.Lfunc_end0:
	.size	bluestein_single_back_len468_dim1_half_op_CI_CI, .Lfunc_end0-bluestein_single_back_len468_dim1_half_op_CI_CI
                                        ; -- End function
	.section	.AMDGPU.csdata,"",@progbits
; Kernel info:
; codeLenInByte = 19380
; NumSgprs: 36
; NumVgprs: 143
; ScratchSize: 0
; MemoryBound: 0
; FloatMode: 240
; IeeeMode: 1
; LDSByteSize: 1872 bytes/workgroup (compile time only)
; SGPRBlocks: 4
; VGPRBlocks: 35
; NumSGPRsForWavesPerEU: 36
; NumVGPRsForWavesPerEU: 143
; Occupancy: 1
; WaveLimiterHint : 1
; COMPUTE_PGM_RSRC2:SCRATCH_EN: 0
; COMPUTE_PGM_RSRC2:USER_SGPR: 6
; COMPUTE_PGM_RSRC2:TRAP_HANDLER: 0
; COMPUTE_PGM_RSRC2:TGID_X_EN: 1
; COMPUTE_PGM_RSRC2:TGID_Y_EN: 0
; COMPUTE_PGM_RSRC2:TGID_Z_EN: 0
; COMPUTE_PGM_RSRC2:TIDIG_COMP_CNT: 0
	.type	__hip_cuid_decc88d3b1e4c284,@object ; @__hip_cuid_decc88d3b1e4c284
	.section	.bss,"aw",@nobits
	.globl	__hip_cuid_decc88d3b1e4c284
__hip_cuid_decc88d3b1e4c284:
	.byte	0                               ; 0x0
	.size	__hip_cuid_decc88d3b1e4c284, 1

	.ident	"AMD clang version 19.0.0git (https://github.com/RadeonOpenCompute/llvm-project roc-6.4.0 25133 c7fe45cf4b819c5991fe208aaa96edf142730f1d)"
	.section	".note.GNU-stack","",@progbits
	.addrsig
	.addrsig_sym __hip_cuid_decc88d3b1e4c284
	.amdgpu_metadata
---
amdhsa.kernels:
  - .args:
      - .actual_access:  read_only
        .address_space:  global
        .offset:         0
        .size:           8
        .value_kind:     global_buffer
      - .actual_access:  read_only
        .address_space:  global
        .offset:         8
        .size:           8
        .value_kind:     global_buffer
      - .actual_access:  read_only
        .address_space:  global
        .offset:         16
        .size:           8
        .value_kind:     global_buffer
      - .actual_access:  read_only
        .address_space:  global
        .offset:         24
        .size:           8
        .value_kind:     global_buffer
      - .actual_access:  read_only
        .address_space:  global
        .offset:         32
        .size:           8
        .value_kind:     global_buffer
      - .offset:         40
        .size:           8
        .value_kind:     by_value
      - .address_space:  global
        .offset:         48
        .size:           8
        .value_kind:     global_buffer
      - .address_space:  global
        .offset:         56
        .size:           8
        .value_kind:     global_buffer
      - .address_space:  global
        .offset:         64
        .size:           8
        .value_kind:     global_buffer
      - .address_space:  global
        .offset:         72
        .size:           8
        .value_kind:     global_buffer
      - .offset:         80
        .size:           4
        .value_kind:     by_value
      - .address_space:  global
        .offset:         88
        .size:           8
        .value_kind:     global_buffer
      - .address_space:  global
        .offset:         96
        .size:           8
        .value_kind:     global_buffer
    .group_segment_fixed_size: 1872
    .kernarg_segment_align: 8
    .kernarg_segment_size: 104
    .language:       OpenCL C
    .language_version:
      - 2
      - 0
    .max_flat_workgroup_size: 52
    .name:           bluestein_single_back_len468_dim1_half_op_CI_CI
    .private_segment_fixed_size: 0
    .sgpr_count:     36
    .sgpr_spill_count: 0
    .symbol:         bluestein_single_back_len468_dim1_half_op_CI_CI.kd
    .uniform_work_group_size: 1
    .uses_dynamic_stack: false
    .vgpr_count:     143
    .vgpr_spill_count: 0
    .wavefront_size: 64
amdhsa.target:   amdgcn-amd-amdhsa--gfx906
amdhsa.version:
  - 1
  - 2
...

	.end_amdgpu_metadata
